;; amdgpu-corpus repo=ROCm/aiter kind=harvested arch=n/a opt=n/a

/root/src/amdgpu-assembly/repos/ROCm__aiter/hsa/gfx942/fmha_v3_fwd/MI308/fwd_hd192x128_bf16_causal_rtz.co:	file format elf64-amdgpu

Disassembly of section .text:

0000000000003300 <_ZN5aiter34fmha_fwd_hd192x128_bf16_causal_rtzE>:
	s_and_b32 s1, s1, 0xffff                                   // 000000003300: 8601FF01 0000FFFF
	s_load_dwordx2 s[20:21], s[0:1], 0x0                       // 000000003308: C0060500 00000000
	s_load_dwordx2 s[8:9], s[0:1], 0x10                        // 000000003310: C0060200 00000010
	s_load_dwordx2 s[12:13], s[0:1], 0x20                      // 000000003318: C0060300 00000020
	s_load_dwordx2 s[16:17], s[0:1], 0x30                      // 000000003320: C0060400 00000030
	s_load_dwordx2 s[24:25], s[0:1], 0x40                      // 000000003328: C0060600 00000040
	s_load_dword s28, s[0:1], 0x50                             // 000000003330: C0020700 00000050
	s_load_dword s30, s[0:1], 0x60                             // 000000003338: C0020780 00000060
	s_load_dword s62, s[0:1], 0x70                             // 000000003340: C0020F80 00000070
	s_load_dword s31, s[0:1], 0x80                             // 000000003348: C00207C0 00000080
	s_load_dword s32, s[0:1], 0x90                             // 000000003350: C0020800 00000090
	s_load_dword s33, s[0:1], 0xa0                             // 000000003358: C0020840 000000A0
	s_load_dword s46, s[0:1], 0xb0                             // 000000003360: C0020B80 000000B0
	s_load_dword s61, s[0:1], 0xc0                             // 000000003368: C0020F40 000000C0
	s_load_dword s47, s[0:1], 0xd0                             // 000000003370: C0020BC0 000000D0
	s_load_dword s48, s[0:1], 0xe0                             // 000000003378: C0020C00 000000E0
	s_load_dword s34, s[0:1], 0xf0                             // 000000003380: C0020880 000000F0
	s_load_dword s37, s[0:1], 0x100                            // 000000003388: C0020940 00000100
	s_load_dword s7, s[0:1], 0x110                             // 000000003390: C00201C0 00000110
	s_load_dword s96, s[0:1], 0x140                            // 000000003398: C0021800 00000140
	s_load_dword s80, s[0:1], 0x150                            // 0000000033A0: C0021400 00000150
	s_load_dword s81, s[0:1], 0x160                            // 0000000033A8: C0021440 00000160
	s_load_dword s82, s[0:1], 0x170                            // 0000000033B0: C0021480 00000170
	s_load_dword s83, s[0:1], 0x180                            // 0000000033B8: C00214C0 00000180
	s_load_dword s84, s[0:1], 0x190                            // 0000000033C0: C0021500 00000190
	s_load_dword s85, s[0:1], 0x1a0                            // 0000000033C8: C0021540 000001A0
	s_load_dwordx2 s[76:77], s[0:1], 0x1b0                     // 0000000033D0: C0061300 000001B0
	s_load_dwordx2 s[78:79], s[0:1], 0x1c0                     // 0000000033D8: C0061380 000001C0
	s_load_dword s86, s[0:1], 0x1d0                            // 0000000033E0: C0021580 000001D0
	s_load_dwordx2 s[88:89], s[0:1], 0x1e0                     // 0000000033E8: C0061600 000001E0
	s_load_dwordx2 s[90:91], s[0:1], 0x1f0                     // 0000000033F0: C0061680 000001F0
	v_lshrrev_b32_e32 v1, 10, v0                               // 0000000033F8: 2002008A
	v_lshrrev_b32_e32 v2, 10, v1                               // 0000000033FC: 2004028A
	v_and_b32_e32 v2, 0x3ff, v2                                // 000000003400: 260404FF 000003FF
	v_and_b32_e32 v1, 0x3ff, v1                                // 000000003408: 260202FF 000003FF
	v_and_b32_e32 v0, 0x3ff, v0                                // 000000003410: 260000FF 000003FF
	v_lshrrev_b32_e32 v3, 6, v0                                // 000000003418: 20060086
	v_and_b32_e32 v0, 63, v0                                   // 00000000341C: 260000BF
	s_mov_b32 s2, s2                                           // 000000003420: BE820002
	s_mov_b32 s3, s3                                           // 000000003424: BE830003
	s_mov_b32 s4, s4                                           // 000000003428: BE840004
	v_readfirstlane_b32 s5, v3                                 // 00000000342C: 7E0A0503
	s_waitcnt lgkmcnt(0)                                       // 000000003430: BF8CC07F
	s_add_u32 s41, s30, 0x7f                                   // 000000003434: 8029FF1E 0000007F
	s_lshr_b32 s40, s41, 7                                     // 00000000343C: 8F288729
	s_sub_u32 s40, s40, 1                                      // 000000003440: 80A88128
	s_sub_u32 s3, s40, s3                                      // 000000003444: 80830328
	s_mov_b32 s34, 0                                           // 000000003448: BEA20080
	s_nop 0                                                    // 00000000344C: BF800000
	s_lshr_b32 s40, s34, 1                                     // 000000003450: 8F288122
	s_and_b32 s40, 3, s40                                      // 000000003454: 86282883
	s_cmp_lt_u32 s40, 1                                        // 000000003458: BF0A8128
	s_cbranch_scc1 label_0074                                  // 00000000345C: BF85001C
	s_add_u32 s41, s30, 0x7f                                   // 000000003460: 8029FF1E 0000007F
	s_lshr_b32 s41, s41, 7                                     // 000000003468: 8F298729
	s_add_u32 s41, s41, 1                                      // 00000000346C: 80298129
	s_lshr_b32 s6, s41, 1                                      // 000000003470: 8F068129
	s_cmp_eq_u32 s40, 2                                        // 000000003474: BF068228
	s_cbranch_scc1 label_0067                                  // 000000003478: BF850008
	s_lshr_b32 s41, s6, 2                                      // 00000000347C: 8F298206
	s_lshr_b32 s42, s3, 2                                      // 000000003480: 8F2A8203
	s_and_b32 s40, s3, 3                                       // 000000003484: 86288303
	s_mul_i32 s40, s40, s41                                    // 000000003488: 92282928
	s_add_u32 s40, s42, s40                                    // 00000000348C: 8028282A
	s_cmp_lt_i32 s42, s41                                      // 000000003490: BF04292A
	s_cselect_b32 s3, s40, s3                                  // 000000003494: 85030328
	s_branch label_0074                                        // 000000003498: BF82000D

000000000000349c <label_0067>:
	s_and_b32 s40, s2, 3                                       // 00000000349C: 86288302
	s_mul_i32 s40, s40, s6                                     // 0000000034A0: 92280628
	s_add_u32 s40, s40, s3                                     // 0000000034A4: 80280328
	s_and_b32 s41, s40, 3                                      // 0000000034A8: 86298328
	s_lshr_b32 s3, s40, 2                                      // 0000000034AC: 8F038228
	s_and_b32 s2, s2, -4                                       // 0000000034B0: 8602C402
	s_add_u32 s2, s2, s41                                      // 0000000034B4: 80022902
	s_nop 0                                                    // 0000000034B8: BF800000
	s_nop 0                                                    // 0000000034BC: BF800000
	s_nop 0                                                    // 0000000034C0: BF800000
	s_nop 0                                                    // 0000000034C4: BF800000
	s_nop 0                                                    // 0000000034C8: BF800000
	s_nop 0                                                    // 0000000034CC: BF800000

00000000000034d0 <label_0074>:
	s_mul_i32 s40, s30, s62                                    // 0000000034D0: 92283E1E
	s_mov_b32 s10, s40                                         // 0000000034D4: BE8A0028
	s_mul_i32 s40, s30, s83                                    // 0000000034D8: 9228531E
	s_mov_b32 s22, s40                                         // 0000000034DC: BE960028
	s_mul_i32 s40, s7, s61                                     // 0000000034E0: 92283D07
	s_mov_b32 s14, s40                                         // 0000000034E4: BE8E0028
	s_mul_i32 s40, s7, s80                                     // 0000000034E8: 92285007
	s_mov_b32 s18, s40                                         // 0000000034EC: BE920028
	s_mul_i32 s40, s30, 4                                      // 0000000034F0: 9228841E
	s_mov_b32 s26, s40                                         // 0000000034F4: BE9A0028
	s_mov_b32 s23, 0x20000                                     // 0000000034F8: BE9700FF 00020000
	s_mov_b32 s11, 0x20000                                     // 000000003500: BE8B00FF 00020000
	s_mov_b32 s15, 0x20000                                     // 000000003508: BE8F00FF 00020000
	s_mov_b32 s19, 0x20000                                     // 000000003510: BE9300FF 00020000
	s_mov_b32 s27, 0x20000                                     // 000000003518: BE9B00FF 00020000
	s_and_b32 s21, s21, 0xffff                                 // 000000003520: 8615FF15 0000FFFF
	s_and_b32 s9, s9, 0xffff                                   // 000000003528: 8609FF09 0000FFFF
	s_and_b32 s13, s13, 0xffff                                 // 000000003530: 860DFF0D 0000FFFF
	s_and_b32 s17, s17, 0xffff                                 // 000000003538: 8611FF11 0000FFFF
	s_and_b32 s25, s25, 0xffff                                 // 000000003540: 8619FF19 0000FFFF
	s_nop 0                                                    // 000000003548: BF800000
	s_nop 0                                                    // 00000000354C: BF800000
	s_mov_b32 s64, s2                                          // 000000003550: BEC00002
	s_mov_b32 s65, s46                                         // 000000003554: BEC1002E
	v_cvt_f32_u32_e32 v40, s65                                 // 000000003558: 7E500C41
	s_sub_i32 s40, 0, s65                                      // 00000000355C: 81A84180
	v_rcp_iflag_f32_e32 v40, v40                               // 000000003560: 7E504728
	s_nop 0                                                    // 000000003564: BF800000
	v_mul_f32_e32 v40, 0x4f7ffffe, v40                         // 000000003568: 0A5050FF 4F7FFFFE
	v_cvt_u32_f32_e32 v40, v40                                 // 000000003570: 7E500F28
	v_mul_lo_u32 v41, s40, v40                                 // 000000003574: D2850029 00025028
	v_mul_hi_u32 v41, v40, v41                                 // 00000000357C: D2860029 00025328
	v_add_u32_e32 v40, v40, v41                                // 000000003584: 68505328
	v_mul_hi_u32 v40, s64, v40                                 // 000000003588: D2860028 00025040
	v_mul_lo_u32 v41, v40, s65                                 // 000000003590: D2850029 00008328
	v_sub_u32_e32 v43, s64, v41                                // 000000003598: 6A565240
	v_add_u32_e32 v42, 1, v40                                  // 00000000359C: 68545081
	v_cmp_le_u32_e32 vcc, s65, v43                             // 0000000035A0: 7D965641
	v_subrev_u32_e32 v41, s65, v43                             // 0000000035A4: 6C525641
	s_nop 0                                                    // 0000000035A8: BF800000
	v_cndmask_b32_e32 v40, v40, v42, vcc                       // 0000000035AC: 00505528
	v_cndmask_b32_e32 v43, v43, v41, vcc                       // 0000000035B0: 0056532B
	v_add_u32_e32 v41, 1, v40                                  // 0000000035B4: 68525081
	v_cmp_le_u32_e32 vcc, s65, v43                             // 0000000035B8: 7D965641
	s_nop 1                                                    // 0000000035BC: BF800001
	v_cndmask_b32_e32 v43, v40, v41, vcc                       // 0000000035C0: 00565328
	s_nop 3                                                    // 0000000035C4: BF800003
	v_readfirstlane_b32 s66, v43                               // 0000000035C8: 7E84052B
	s_nop 3                                                    // 0000000035CC: BF800003
	s_mov_b32 s49, 0x7060302                                   // 0000000035D0: BEB100FF 07060302
	s_mov_b32 s50, 0x5040100                                   // 0000000035D8: BEB200FF 05040100
	v_mov_b32_e32 v65, 0xffff0000                              // 0000000035E0: 7E8202FF FFFF0000
	v_mov_b32_e32 v66, 0x7fff0000                              // 0000000035E8: 7E8402FF 7FFF0000
	v_mov_b32_e32 v67, 0x7fff                                  // 0000000035F0: 7E8602FF 00007FFF
	v_lshrrev_b32_e32 v40, 5, v0                               // 0000000035F8: 20500085
	v_sub_u32_e32 v40, 1, v40                                  // 0000000035FC: 6A505081
	v_mul_i32_i24_e32 v56, 0x80, v40                           // 000000003600: 0C7050FF 00000080
	v_and_b32_e32 v40, 31, v0                                  // 000000003608: 2650009F
	v_mul_i32_i24_e32 v40, 4, v40                              // 00000000360C: 0C505084
	v_add_u32_e32 v56, v40, v56                                // 000000003610: 68707128
	s_mov_b32 s60, 0                                           // 000000003614: BEBC0080
	s_mov_b32 s35, 0                                           // 000000003618: BEA30080
	s_mul_i32 s43, 32, s61                                     // 00000000361C: 922B3DA0
	s_mul_i32 s44, 32, s80                                     // 000000003620: 922C50A0
	s_mul_i32 s40, s4, s33                                     // 000000003624: 92282104
	s_mul_hi_u32 s42, s4, s33                                  // 000000003628: 962A2104
	s_and_b32 s42, s42, 0xffff                                 // 00000000362C: 862AFF2A 0000FFFF
	s_mul_i32 s41, s2, s32                                     // 000000003634: 92292002
	s_add_u32 s40, s40, s41                                    // 000000003638: 80282928
	s_add_u32 s8, s40, s8                                      // 00000000363C: 80080828
	s_addc_u32 s9, s42, s9                                     // 000000003640: 8209092A
	s_mul_i32 s40, s4, s85                                     // 000000003644: 92285504
	s_mul_hi_u32 s42, s4, s85                                  // 000000003648: 962A5504
	s_and_b32 s42, s42, 0xffff                                 // 00000000364C: 862AFF2A 0000FFFF
	s_mul_i32 s41, s2, s84                                     // 000000003654: 92295402
	s_add_u32 s40, s40, s41                                    // 000000003658: 80282928
	s_add_u32 s20, s40, s20                                    // 00000000365C: 80141428
	s_addc_u32 s21, s42, s21                                   // 000000003660: 8215152A
	s_mul_i32 s40, s96, s86                                    // 000000003664: 92285660
	s_mul_i32 s40, s4, s40                                     // 000000003668: 92282804
	s_mul_i32 s41, s2, s86                                     // 00000000366C: 92295602
	s_nop 0                                                    // 000000003670: BF800000
	s_add_i32 s40, s40, s41                                    // 000000003674: 81282928
	s_add_u32 s24, s40, s24                                    // 000000003678: 80181828
	s_addc_u32 s25, 0, s25                                     // 00000000367C: 82191980
	s_mul_i32 s40, s4, s48                                     // 000000003680: 92283004
	s_mul_hi_u32 s42, s4, s48                                  // 000000003684: 962A3004
	s_and_b32 s42, s42, 0xffff                                 // 000000003688: 862AFF2A 0000FFFF
	s_mul_i32 s41, s66, s47                                    // 000000003690: 92292F42
	s_add_u32 s40, s40, s41                                    // 000000003694: 80282928
	s_add_u32 s12, s40, s12                                    // 000000003698: 800C0C28
	s_addc_u32 s13, s42, s13                                   // 00000000369C: 820D0D2A
	s_mul_i32 s40, s4, s82                                     // 0000000036A0: 92285204
	s_mul_hi_u32 s42, s4, s82                                  // 0000000036A4: 962A5204
	s_and_b32 s42, s42, 0xffff                                 // 0000000036A8: 862AFF2A 0000FFFF
	s_mul_i32 s41, s66, s81                                    // 0000000036B0: 92295142
	s_add_u32 s40, s40, s41                                    // 0000000036B4: 80282928
	s_add_u32 s16, s40, s16                                    // 0000000036B8: 80101028
	s_addc_u32 s17, s42, s17                                   // 0000000036BC: 8211112A
	s_mov_b32 s52, 0                                           // 0000000036C0: BEB40080
	s_mov_b32 s53, 32                                          // 0000000036C4: BEB500A0
	s_mov_b32 s36, 0                                           // 0000000036C8: BEA40080
	s_mov_b32 s29, 0x3fb8aa3b                                  // 0000000036CC: BE9D00FF 3FB8AA3B
	v_mov_b32_e32 v55, 0xff800000                              // 0000000036D4: 7E6E02FF FF800000
	s_mov_b32 s59, 0                                           // 0000000036DC: BEBB0080
	s_lshr_b32 s54, s7, 5                                      // 0000000036E0: 8F368507
	s_lshl_b32 s54, s54, 5                                     // 0000000036E4: 8E368536
	v_lshrrev_b32_e32 v40, 5, v0                               // 0000000036E8: 20500085
	v_mul_i32_i24_e32 v54, 4, v40                              // 0000000036EC: 0C6C5084
	s_add_u32 s38, s3, 1                                       // 0000000036F0: 80268103
	s_lshl_b32 s38, s38, 7                                     // 0000000036F4: 8E268726
	s_lshl_b32 s51, s3, 7                                      // 0000000036F8: 8E338703
	s_sub_i32 s40, s7, s30                                     // 0000000036FC: 81A81E07
	s_add_i32 s51, s51, s40                                    // 000000003700: 81332833
	s_ashr_i32 s51, s51, 5                                     // 000000003704: 90338533
	s_lshl_b32 s51, s51, 5                                     // 000000003708: 8E338533
	s_add_i32 s38, s38, s40                                    // 00000000370C: 81262826
	s_cmp_lt_i32 s38, s7                                       // 000000003710: BF040726
	s_cselect_b32 s38, s38, s7                                 // 000000003714: 85260726
	s_cmp_lt_i32 s38, 32                                       // 000000003718: BF04A026
	s_cselect_b32 s38, 32, s38                                 // 00000000371C: 852626A0
	s_nop 0                                                    // 000000003720: BF800000
	s_nop 0                                                    // 000000003724: BF800000
	s_mul_i32 s40, s5, 32                                      // 000000003728: 9228A005
	v_lshrrev_b32_e32 v40, 5, v0                               // 00000000372C: 20500085
	v_mul_i32_i24_e32 v40, 4, v40                              // 000000003730: 0C505084
	v_and_b32_e32 v53, 31, v0                                  // 000000003734: 266A009F
	v_sub_i32 v53, v53, v40                                    // 000000003738: D29D0035 00025135
	s_nop 0                                                    // 000000003740: BF800000
	v_add_i32 v53, v53, s40                                    // 000000003744: D29C0035 00005135
	s_nop 0                                                    // 00000000374C: BF800000
	s_mov_b32 s39, 0                                           // 000000003750: BEA70080
	v_mov_b32_e32 v41, s29                                     // 000000003754: 7E52021D
	v_mov_b32_e32 v40, s28                                     // 000000003758: 7E50021C
	v_mul_f32_e32 v40, s29, v40                                // 00000000375C: 0A50501D
	v_rcp_f32_e32 v41, v41                                     // 000000003760: 7E524529
	v_mov_b32_e32 v46, 0                                       // 000000003764: 7E5C0280
	v_mov_b32_e32 v52, 0xff7fffff                              // 000000003768: 7E6802FF FF7FFFFF
	v_mov_b32_e32 v44, 0                                       // 000000003770: 7E580280
	v_mov_b32_e32 v46, 0                                       // 000000003774: 7E5C0280
	v_readfirstlane_b32 s56, v40                               // 000000003778: 7E700528
	v_readfirstlane_b32 s45, v41                               // 00000000377C: 7E5A0529
	v_rcp_f32_e32 v40, v40                                     // 000000003780: 7E504528
	s_nop 1                                                    // 000000003784: BF800001
	v_mul_f32_e32 v40, v52, v40                                // 000000003788: 0A505134
	v_max_f32_e32 v52, v52, v40                                // 00000000378C: 16685134
	s_mul_i32 s63, s3, s31                                     // 000000003790: 923F1F03
	v_lshrrev_b32_e32 v40, 5, v0                               // 000000003794: 20500085
	v_lshlrev_b32_e32 v40, 4, v40                              // 000000003798: 24505084
	v_mul_i32_i24_e64 v40, v40, s62                            // 00000000379C: D1060028 00007D28
	v_and_b32_e32 v4, 31, v0                                   // 0000000037A4: 2608009F
	v_lshlrev_b32_e32 v4, 2, v4                                // 0000000037A8: 24080882
	v_add_u32_e32 v4, v40, v4                                  // 0000000037AC: 68080928
	s_mul_i32 s41, s5, s62                                     // 0000000037B0: 92293E05
	v_add_u32_e32 v4, s41, v4                                  // 0000000037B4: 68080829
	s_mul_i32 s40, 4, s62                                      // 0000000037B8: 92283E84
	v_add_u32_e32 v5, s40, v4                                  // 0000000037BC: 680A0828
	v_add_u32_e32 v6, s40, v5                                  // 0000000037C0: 680C0A28
	v_add_u32_e32 v7, s40, v6                                  // 0000000037C4: 680E0C28
	v_add_u32_e32 v8, 0x80, v4                                 // 0000000037C8: 681008FF 00000080
	v_add_u32_e32 v9, 0x80, v5                                 // 0000000037D0: 68120AFF 00000080
	v_add_u32_e32 v10, 0x80, v6                                // 0000000037D8: 68140CFF 00000080
	v_add_u32_e32 v11, 0x80, v7                                // 0000000037E0: 68160EFF 00000080
	v_add_u32_e32 v12, 0x80, v8                                // 0000000037E8: 681810FF 00000080
	v_add_u32_e32 v13, 0x80, v9                                // 0000000037F0: 681A12FF 00000080
	v_add_u32_e32 v14, 0x80, v10                               // 0000000037F8: 681C14FF 00000080
	v_add_u32_e32 v15, 0x80, v11                               // 000000003800: 681E16FF 00000080
	v_add_u32_e32 v4, s63, v4                                  // 000000003808: 6808083F
	v_add_u32_e32 v5, s63, v5                                  // 00000000380C: 680A0A3F
	v_add_u32_e32 v6, s63, v6                                  // 000000003810: 680C0C3F
	v_add_u32_e32 v7, s63, v7                                  // 000000003814: 680E0E3F
	v_add_u32_e32 v8, s63, v8                                  // 000000003818: 6810103F
	v_add_u32_e32 v9, s63, v9                                  // 00000000381C: 6812123F
	v_add_u32_e32 v10, s63, v10                                // 000000003820: 6814143F
	v_add_u32_e32 v11, s63, v11                                // 000000003824: 6816163F
	v_add_u32_e32 v12, s63, v12                                // 000000003828: 6818183F
	v_add_u32_e32 v13, s63, v13                                // 00000000382C: 681A1A3F
	v_add_u32_e32 v14, s63, v14                                // 000000003830: 681C1C3F
	v_add_u32_e32 v15, s63, v15                                // 000000003834: 681E1E3F
	s_mul_i32 s40, s5, 0x110                                   // 000000003838: 9228FF05 00000110
	s_add_u32 s55, 0, s40                                      // 000000003840: 80372880
	s_mov_b32 s57, s56                                         // 000000003844: BEB90038
	s_mov_b32 s40, 0                                           // 000000003848: BEA80080
	s_add_u32 s58, s40, s55                                    // 00000000384C: 803A3728
	s_mul_i32 s59, 0, s62                                      // 000000003850: 923B3E80
	s_mov_b32 m0, s58                                          // 000000003854: BEFC003A
	buffer_load_dword v4, s[8:11], s59 offen lds               // 000000003858: E0511000 3B020004
	s_add_u32 m0, 0x440, m0                                    // 000000003860: 807C7CFF 00000440
	buffer_load_dword v5, s[8:11], s59 offen lds               // 000000003868: E0511000 3B020005
	s_add_u32 m0, 0x440, m0                                    // 000000003870: 807C7CFF 00000440
	buffer_load_dword v6, s[8:11], s59 offen lds               // 000000003878: E0511000 3B020006
	s_add_u32 m0, 0x440, m0                                    // 000000003880: 807C7CFF 00000440
	buffer_load_dword v7, s[8:11], s59 offen lds               // 000000003888: E0511000 3B020007
	s_add_u32 m0, 0x440, m0                                    // 000000003890: 807C7CFF 00000440
	buffer_load_dword v8, s[8:11], s59 offen lds               // 000000003898: E0511000 3B020008
	s_add_u32 m0, 0x440, m0                                    // 0000000038A0: 807C7CFF 00000440
	buffer_load_dword v9, s[8:11], s59 offen lds               // 0000000038A8: E0511000 3B020009
	s_add_u32 m0, 0x440, m0                                    // 0000000038B0: 807C7CFF 00000440
	buffer_load_dword v10, s[8:11], s59 offen lds              // 0000000038B8: E0511000 3B02000A
	s_add_u32 m0, 0x440, m0                                    // 0000000038C0: 807C7CFF 00000440
	buffer_load_dword v11, s[8:11], s59 offen lds              // 0000000038C8: E0511000 3B02000B
	s_add_u32 m0, 0x440, m0                                    // 0000000038D0: 807C7CFF 00000440
	buffer_load_dword v12, s[8:11], s59 offen lds              // 0000000038D8: E0511000 3B02000C
	s_add_u32 m0, 0x440, m0                                    // 0000000038E0: 807C7CFF 00000440
	buffer_load_dword v13, s[8:11], s59 offen lds              // 0000000038E8: E0511000 3B02000D
	s_add_u32 m0, 0x440, m0                                    // 0000000038F0: 807C7CFF 00000440
	buffer_load_dword v14, s[8:11], s59 offen lds              // 0000000038F8: E0511000 3B02000E
	s_add_u32 m0, 0x440, m0                                    // 000000003900: 807C7CFF 00000440
	buffer_load_dword v15, s[8:11], s59 offen lds              // 000000003908: E0511000 3B02000F
	s_mov_b32 s40, 0x3300                                      // 000000003910: BEA800FF 00003300
	s_add_u32 s58, s40, s55                                    // 000000003918: 803A3728
	s_mul_i32 s59, 32, s62                                     // 00000000391C: 923B3EA0
	s_nop 0                                                    // 000000003920: BF800000
	s_mov_b32 m0, s58                                          // 000000003924: BEFC003A
	buffer_load_dword v4, s[8:11], s59 offen lds               // 000000003928: E0511000 3B020004
	s_add_u32 m0, 0x440, m0                                    // 000000003930: 807C7CFF 00000440
	buffer_load_dword v5, s[8:11], s59 offen lds               // 000000003938: E0511000 3B020005
	s_add_u32 m0, 0x440, m0                                    // 000000003940: 807C7CFF 00000440
	buffer_load_dword v6, s[8:11], s59 offen lds               // 000000003948: E0511000 3B020006
	s_add_u32 m0, 0x440, m0                                    // 000000003950: 807C7CFF 00000440
	buffer_load_dword v7, s[8:11], s59 offen lds               // 000000003958: E0511000 3B020007
	s_add_u32 m0, 0x440, m0                                    // 000000003960: 807C7CFF 00000440
	buffer_load_dword v8, s[8:11], s59 offen lds               // 000000003968: E0511000 3B020008
	s_add_u32 m0, 0x440, m0                                    // 000000003970: 807C7CFF 00000440
	buffer_load_dword v9, s[8:11], s59 offen lds               // 000000003978: E0511000 3B020009
	s_add_u32 m0, 0x440, m0                                    // 000000003980: 807C7CFF 00000440
	buffer_load_dword v10, s[8:11], s59 offen lds              // 000000003988: E0511000 3B02000A
	s_add_u32 m0, 0x440, m0                                    // 000000003990: 807C7CFF 00000440
	buffer_load_dword v11, s[8:11], s59 offen lds              // 000000003998: E0511000 3B02000B
	s_add_u32 m0, 0x440, m0                                    // 0000000039A0: 807C7CFF 00000440
	buffer_load_dword v12, s[8:11], s59 offen lds              // 0000000039A8: E0511000 3B02000C
	s_add_u32 m0, 0x440, m0                                    // 0000000039B0: 807C7CFF 00000440
	buffer_load_dword v13, s[8:11], s59 offen lds              // 0000000039B8: E0511000 3B02000D
	s_add_u32 m0, 0x440, m0                                    // 0000000039C0: 807C7CFF 00000440
	buffer_load_dword v14, s[8:11], s59 offen lds              // 0000000039C8: E0511000 3B02000E
	s_add_u32 m0, 0x440, m0                                    // 0000000039D0: 807C7CFF 00000440
	buffer_load_dword v15, s[8:11], s59 offen lds              // 0000000039D8: E0511000 3B02000F
	s_mov_b32 s40, 0x6600                                      // 0000000039E0: BEA800FF 00006600
	s_add_u32 s58, s40, s55                                    // 0000000039E8: 803A3728
	s_mul_i32 s59, 64, s62                                     // 0000000039EC: 923B3EC0
	s_nop 0                                                    // 0000000039F0: BF800000
	s_mov_b32 m0, s58                                          // 0000000039F4: BEFC003A
	buffer_load_dword v4, s[8:11], s59 offen lds               // 0000000039F8: E0511000 3B020004
	s_add_u32 m0, 0x440, m0                                    // 000000003A00: 807C7CFF 00000440
	buffer_load_dword v5, s[8:11], s59 offen lds               // 000000003A08: E0511000 3B020005
	s_add_u32 m0, 0x440, m0                                    // 000000003A10: 807C7CFF 00000440
	buffer_load_dword v6, s[8:11], s59 offen lds               // 000000003A18: E0511000 3B020006
	s_add_u32 m0, 0x440, m0                                    // 000000003A20: 807C7CFF 00000440
	buffer_load_dword v7, s[8:11], s59 offen lds               // 000000003A28: E0511000 3B020007
	s_add_u32 m0, 0x440, m0                                    // 000000003A30: 807C7CFF 00000440
	buffer_load_dword v8, s[8:11], s59 offen lds               // 000000003A38: E0511000 3B020008
	s_add_u32 m0, 0x440, m0                                    // 000000003A40: 807C7CFF 00000440
	buffer_load_dword v9, s[8:11], s59 offen lds               // 000000003A48: E0511000 3B020009
	s_add_u32 m0, 0x440, m0                                    // 000000003A50: 807C7CFF 00000440
	buffer_load_dword v10, s[8:11], s59 offen lds              // 000000003A58: E0511000 3B02000A
	s_add_u32 m0, 0x440, m0                                    // 000000003A60: 807C7CFF 00000440
	buffer_load_dword v11, s[8:11], s59 offen lds              // 000000003A68: E0511000 3B02000B
	s_add_u32 m0, 0x440, m0                                    // 000000003A70: 807C7CFF 00000440
	buffer_load_dword v12, s[8:11], s59 offen lds              // 000000003A78: E0511000 3B02000C
	s_add_u32 m0, 0x440, m0                                    // 000000003A80: 807C7CFF 00000440
	buffer_load_dword v13, s[8:11], s59 offen lds              // 000000003A88: E0511000 3B02000D
	s_add_u32 m0, 0x440, m0                                    // 000000003A90: 807C7CFF 00000440
	buffer_load_dword v14, s[8:11], s59 offen lds              // 000000003A98: E0511000 3B02000E
	s_add_u32 m0, 0x440, m0                                    // 000000003AA0: 807C7CFF 00000440
	buffer_load_dword v15, s[8:11], s59 offen lds              // 000000003AA8: E0511000 3B02000F
	s_mov_b32 s40, 0x9900                                      // 000000003AB0: BEA800FF 00009900
	s_add_u32 s58, s40, s55                                    // 000000003AB8: 803A3728
	s_mul_i32 s59, 0x60, s62                                   // 000000003ABC: 923B3EFF 00000060
	s_mov_b32 m0, s58                                          // 000000003AC4: BEFC003A
	buffer_load_dword v4, s[8:11], s59 offen lds               // 000000003AC8: E0511000 3B020004
	s_add_u32 m0, 0x440, m0                                    // 000000003AD0: 807C7CFF 00000440
	buffer_load_dword v5, s[8:11], s59 offen lds               // 000000003AD8: E0511000 3B020005
	s_add_u32 m0, 0x440, m0                                    // 000000003AE0: 807C7CFF 00000440
	buffer_load_dword v6, s[8:11], s59 offen lds               // 000000003AE8: E0511000 3B020006
	s_add_u32 m0, 0x440, m0                                    // 000000003AF0: 807C7CFF 00000440
	buffer_load_dword v7, s[8:11], s59 offen lds               // 000000003AF8: E0511000 3B020007
	s_add_u32 m0, 0x440, m0                                    // 000000003B00: 807C7CFF 00000440
	buffer_load_dword v8, s[8:11], s59 offen lds               // 000000003B08: E0511000 3B020008
	s_add_u32 m0, 0x440, m0                                    // 000000003B10: 807C7CFF 00000440
	buffer_load_dword v9, s[8:11], s59 offen lds               // 000000003B18: E0511000 3B020009
	s_add_u32 m0, 0x440, m0                                    // 000000003B20: 807C7CFF 00000440
	buffer_load_dword v10, s[8:11], s59 offen lds              // 000000003B28: E0511000 3B02000A
	s_add_u32 m0, 0x440, m0                                    // 000000003B30: 807C7CFF 00000440
	buffer_load_dword v11, s[8:11], s59 offen lds              // 000000003B38: E0511000 3B02000B
	s_add_u32 m0, 0x440, m0                                    // 000000003B40: 807C7CFF 00000440
	buffer_load_dword v12, s[8:11], s59 offen lds              // 000000003B48: E0511000 3B02000C
	s_add_u32 m0, 0x440, m0                                    // 000000003B50: 807C7CFF 00000440
	buffer_load_dword v13, s[8:11], s59 offen lds              // 000000003B58: E0511000 3B02000D
	s_add_u32 m0, 0x440, m0                                    // 000000003B60: 807C7CFF 00000440
	buffer_load_dword v14, s[8:11], s59 offen lds              // 000000003B68: E0511000 3B02000E
	s_add_u32 m0, 0x440, m0                                    // 000000003B70: 807C7CFF 00000440
	buffer_load_dword v15, s[8:11], s59 offen lds              // 000000003B78: E0511000 3B02000F
	v_mov_b32_e32 v100, 0                                      // 000000003B80: 7EC80280
	v_mov_b32_e32 v101, 0                                      // 000000003B84: 7ECA0280
	v_mov_b32_e32 v102, 0                                      // 000000003B88: 7ECC0280
	v_mov_b32_e32 v103, 0                                      // 000000003B8C: 7ECE0280
	v_mov_b32_e32 v104, 0                                      // 000000003B90: 7ED00280
	v_mov_b32_e32 v105, 0                                      // 000000003B94: 7ED20280
	v_mov_b32_e32 v106, 0                                      // 000000003B98: 7ED40280
	v_mov_b32_e32 v107, 0                                      // 000000003B9C: 7ED60280
	v_mov_b32_e32 v108, 0                                      // 000000003BA0: 7ED80280
	v_mov_b32_e32 v109, 0                                      // 000000003BA4: 7EDA0280
	v_mov_b32_e32 v110, 0                                      // 000000003BA8: 7EDC0280
	v_mov_b32_e32 v111, 0                                      // 000000003BAC: 7EDE0280
	v_mov_b32_e32 v112, 0                                      // 000000003BB0: 7EE00280
	v_mov_b32_e32 v113, 0                                      // 000000003BB4: 7EE20280
	v_mov_b32_e32 v114, 0                                      // 000000003BB8: 7EE40280
	v_mov_b32_e32 v115, 0                                      // 000000003BBC: 7EE60280
	v_mov_b32_e32 v116, 0                                      // 000000003BC0: 7EE80280
	v_mov_b32_e32 v117, 0                                      // 000000003BC4: 7EEA0280
	v_mov_b32_e32 v118, 0                                      // 000000003BC8: 7EEC0280
	v_mov_b32_e32 v119, 0                                      // 000000003BCC: 7EEE0280
	v_mov_b32_e32 v120, 0                                      // 000000003BD0: 7EF00280
	v_mov_b32_e32 v121, 0                                      // 000000003BD4: 7EF20280
	v_mov_b32_e32 v122, 0                                      // 000000003BD8: 7EF40280
	v_mov_b32_e32 v123, 0                                      // 000000003BDC: 7EF60280
	v_mov_b32_e32 v124, 0                                      // 000000003BE0: 7EF80280
	v_mov_b32_e32 v125, 0                                      // 000000003BE4: 7EFA0280
	v_mov_b32_e32 v126, 0                                      // 000000003BE8: 7EFC0280
	v_mov_b32_e32 v127, 0                                      // 000000003BEC: 7EFE0280
	v_mov_b32_e32 v128, 0                                      // 000000003BF0: 7F000280
	v_mov_b32_e32 v129, 0                                      // 000000003BF4: 7F020280
	v_mov_b32_e32 v130, 0                                      // 000000003BF8: 7F040280
	v_mov_b32_e32 v131, 0                                      // 000000003BFC: 7F060280
	v_mov_b32_e32 v132, 0                                      // 000000003C00: 7F080280
	v_mov_b32_e32 v133, 0                                      // 000000003C04: 7F0A0280
	v_mov_b32_e32 v134, 0                                      // 000000003C08: 7F0C0280
	v_mov_b32_e32 v135, 0                                      // 000000003C0C: 7F0E0280
	v_mov_b32_e32 v136, 0                                      // 000000003C10: 7F100280
	v_mov_b32_e32 v137, 0                                      // 000000003C14: 7F120280
	v_mov_b32_e32 v138, 0                                      // 000000003C18: 7F140280
	v_mov_b32_e32 v139, 0                                      // 000000003C1C: 7F160280
	v_mov_b32_e32 v140, 0                                      // 000000003C20: 7F180280
	v_mov_b32_e32 v141, 0                                      // 000000003C24: 7F1A0280
	v_mov_b32_e32 v142, 0                                      // 000000003C28: 7F1C0280
	v_mov_b32_e32 v143, 0                                      // 000000003C2C: 7F1E0280
	v_mov_b32_e32 v144, 0                                      // 000000003C30: 7F200280
	v_mov_b32_e32 v145, 0                                      // 000000003C34: 7F220280
	v_mov_b32_e32 v146, 0                                      // 000000003C38: 7F240280
	v_mov_b32_e32 v147, 0                                      // 000000003C3C: 7F260280
	v_mov_b32_e32 v148, 0                                      // 000000003C40: 7F280280
	v_mov_b32_e32 v149, 0                                      // 000000003C44: 7F2A0280
	v_mov_b32_e32 v150, 0                                      // 000000003C48: 7F2C0280
	v_mov_b32_e32 v151, 0                                      // 000000003C4C: 7F2E0280
	v_mov_b32_e32 v152, 0                                      // 000000003C50: 7F300280
	v_mov_b32_e32 v153, 0                                      // 000000003C54: 7F320280
	v_mov_b32_e32 v154, 0                                      // 000000003C58: 7F340280
	v_mov_b32_e32 v155, 0                                      // 000000003C5C: 7F360280
	v_mov_b32_e32 v156, 0                                      // 000000003C60: 7F380280
	v_mov_b32_e32 v157, 0                                      // 000000003C64: 7F3A0280
	v_mov_b32_e32 v158, 0                                      // 000000003C68: 7F3C0280
	v_mov_b32_e32 v159, 0                                      // 000000003C6C: 7F3E0280
	v_mov_b32_e32 v160, 0                                      // 000000003C70: 7F400280
	v_mov_b32_e32 v161, 0                                      // 000000003C74: 7F420280
	v_mov_b32_e32 v162, 0                                      // 000000003C78: 7F440280
	v_mov_b32_e32 v163, 0                                      // 000000003C7C: 7F460280
	s_cmp_le_u32 s7, 0                                         // 000000003C80: BF0B8007
	s_cbranch_scc1 label_0DEA                                  // 000000003C84: BF850B88
	v_lshrrev_b32_e32 v40, 5, v0                               // 000000003C88: 20500085
	v_mul_i32_i24_e32 v41, 4, v40                              // 000000003C8C: 0C525084
	v_and_b32_e32 v40, 31, v0                                  // 000000003C90: 2650009F
	v_lshrrev_b32_e32 v42, 4, v40                              // 000000003C94: 20545084
	v_mul_i32_i24_e32 v42, 32, v42                             // 000000003C98: 0C5454A0
	v_and_b32_e32 v43, 15, v40                                 // 000000003C9C: 2656508F
	v_mul_i32_i24_e32 v2, 0x44, v43                            // 000000003CA0: 0C0456FF 00000044
	v_add_u32_e32 v2, v2, v42                                  // 000000003CA8: 68045502
	v_add_u32_e32 v2, v2, v41                                  // 000000003CAC: 68045302
	v_lshlrev_b32_e32 v2, 2, v2                                // 000000003CB0: 24040482
	s_and_b32 s40, 3, s5                                       // 000000003CB4: 86280583
	s_mul_i32 s40, s40, 0x3300                                 // 000000003CB8: 9228FF28 00003300
	v_add_u32_e32 v2, s40, v2                                  // 000000003CC0: 68040428
	v_lshrrev_b32_e32 v40, 5, v0                               // 000000003CC4: 20500085
	v_mul_i32_i24_e32 v41, 4, v40                              // 000000003CC8: 0C525084
	v_and_b32_e32 v40, 31, v0                                  // 000000003CCC: 2650009F
	v_lshrrev_b32_e32 v42, 4, v40                              // 000000003CD0: 20545084
	v_mul_i32_i24_e32 v42, 32, v42                             // 000000003CD4: 0C5454A0
	v_and_b32_e32 v43, 15, v40                                 // 000000003CD8: 2656508F
	v_mul_i32_i24_e32 v36, 0x44, v43                           // 000000003CDC: 0C4856FF 00000044
	v_add_u32_e32 v36, v36, v42                                // 000000003CE4: 68485524
	v_add_u32_e32 v36, v36, v41                                // 000000003CE8: 68485324
	v_lshlrev_b32_e32 v36, 2, v36                              // 000000003CEC: 24484882
	v_lshrrev_b32_e32 v40, 5, v0                               // 000000003CF0: 20500085
	v_mul_i32_i24_e32 v41, 0x100, v40                          // 000000003CF4: 0C5250FF 00000100
	v_and_b32_e32 v40, 30, v0                                  // 000000003CFC: 2650009E
	v_lshlrev_b32_e32 v40, 1, v40                              // 000000003D00: 24505081
	v_add_u32_e32 v37, v41, v40                                // 000000003D04: 684A5129
	v_and_b32_e32 v40, 1, v0                                   // 000000003D08: 26500081
	v_mul_i32_i24_e32 v40, 0x410, v40                          // 000000003D0C: 0C5050FF 00000410
	v_add_u32_e32 v37, v40, v37                                // 000000003D14: 684A4B28
	v_lshlrev_b32_e32 v37, 2, v37                              // 000000003D18: 244A4A82
	v_lshlrev_b32_e32 v38, 2, v0                               // 000000003D1C: 244C0082
	s_mul_i32 s40, s5, 0x100                                   // 000000003D20: 9228FF05 00000100
	v_add_u32_e32 v38, s40, v38                                // 000000003D28: 684C4C28
	v_lshlrev_b32_e32 v38, 2, v38                              // 000000003D2C: 244C4C82
	v_lshrrev_b32_e32 v40, 5, v0                               // 000000003D30: 20500085
	v_lshlrev_b32_e32 v40, 4, v40                              // 000000003D34: 24505084
	v_mul_i32_i24_e64 v40, v40, s61                            // 000000003D38: D1060028 00007B28
	v_and_b32_e32 v16, 31, v0                                  // 000000003D40: 2620009F
	v_lshlrev_b32_e32 v16, 2, v16                              // 000000003D44: 24202082
	v_add_u32_e32 v16, v40, v16                                // 000000003D48: 68202128
	s_mul_i32 s41, s5, s61                                     // 000000003D4C: 92293D05
	v_add_u32_e32 v16, s41, v16                                // 000000003D50: 68202029
	s_mul_i32 s40, 4, s61                                      // 000000003D54: 92283D84
	v_add_u32_e32 v17, s40, v16                                // 000000003D58: 68222028
	v_add_u32_e32 v18, s40, v17                                // 000000003D5C: 68242228
	v_add_u32_e32 v19, s40, v18                                // 000000003D60: 68262428
	v_add_u32_e32 v20, 0x80, v16                               // 000000003D64: 682820FF 00000080
	v_add_u32_e32 v21, 0x80, v17                               // 000000003D6C: 682A22FF 00000080
	v_add_u32_e32 v22, 0x80, v18                               // 000000003D74: 682C24FF 00000080
	v_add_u32_e32 v23, 0x80, v19                               // 000000003D7C: 682E26FF 00000080
	v_add_u32_e32 v24, 0x80, v20                               // 000000003D84: 683028FF 00000080
	v_add_u32_e32 v25, 0x80, v21                               // 000000003D8C: 68322AFF 00000080
	v_add_u32_e32 v26, 0x80, v22                               // 000000003D94: 68342CFF 00000080
	v_add_u32_e32 v27, 0x80, v23                               // 000000003D9C: 68362EFF 00000080
	s_mul_i32 s40, s5, 0x110                                   // 000000003DA4: 9228FF05 00000110
	s_add_u32 s68, 0, s40                                      // 000000003DAC: 80442880
	s_add_u32 s69, 0x3300, s68                                 // 000000003DB0: 804544FF 00003300
	v_lshlrev_b32_e32 v28, 2, v0                               // 000000003DB8: 24380082
	s_and_b32 s40, 1, s5                                       // 000000003DBC: 86280581
	s_lshl_b32 s40, s40, 2                                     // 000000003DC0: 8E288228
	s_lshr_b32 s41, s5, 1                                      // 000000003DC4: 8F298105
	s_lshl_b32 s41, s41, 4                                     // 000000003DC8: 8E298429
	s_add_i32 s40, s40, s41                                    // 000000003DCC: 81282928
	s_mul_i32 s40, s40, s80                                    // 000000003DD0: 92285028
	v_add_u32_e32 v28, s40, v28                                // 000000003DD4: 68383828
	v_add_u32_e32 v29, s80, v28                                // 000000003DD8: 683A3850
	v_add_u32_e32 v30, s80, v29                                // 000000003DDC: 683C3A50
	v_add_u32_e32 v31, s80, v30                                // 000000003DE0: 683E3C50
	s_mul_i32 s40, s80, 8                                      // 000000003DE4: 92288850
	v_add_u32_e32 v32, s40, v28                                // 000000003DE8: 68403828
	v_add_u32_e32 v33, s40, v29                                // 000000003DEC: 68423A28
	v_add_u32_e32 v34, s40, v30                                // 000000003DF0: 68443C28
	v_add_u32_e32 v35, s40, v31                                // 000000003DF4: 68463E28
	s_waitcnt vmcnt(24)                                        // 000000003DF8: BF8C4F78
	s_barrier                                                  // 000000003DFC: BF8A0000
	s_cmp_lt_i32 s5, 2                                         // 000000003E00: BF048205
	s_cbranch_scc0 label_02DA                                  // 000000003E04: BF840018
	ds_read_b128 a[0:3], v2                                    // 000000003E08: DBFE0000 00000002
	ds_read_b128 a[4:7], v2 offset:32                          // 000000003E10: DBFE0020 04000002
	ds_read_b128 a[8:11], v2 offset:64                         // 000000003E18: DBFE0040 08000002
	ds_read_b128 a[12:15], v2 offset:96                        // 000000003E20: DBFE0060 0C000002
	ds_read_b128 a[16:19], v2 offset:4352                      // 000000003E28: DBFE1100 10000002
	ds_read_b128 a[20:23], v2 offset:4384                      // 000000003E30: DBFE1120 14000002
	ds_read_b128 a[24:27], v2 offset:4416                      // 000000003E38: DBFE1140 18000002
	ds_read_b128 a[28:31], v2 offset:4448                      // 000000003E40: DBFE1160 1C000002
	ds_read_b128 a[32:35], v2 offset:8704                      // 000000003E48: DBFE2200 20000002
	ds_read_b128 a[36:39], v2 offset:8736                      // 000000003E50: DBFE2220 24000002
	ds_read_b128 a[40:43], v2 offset:8768                      // 000000003E58: DBFE2240 28000002
	ds_read_b128 a[44:47], v2 offset:8800                      // 000000003E60: DBFE2260 2C000002

0000000000003e68 <label_02DA>:
	s_waitcnt lgkmcnt(0)                                       // 000000003E68: BF8CC07F
	s_barrier                                                  // 000000003E6C: BF8A0000
	s_nop 0                                                    // 000000003E70: BF800000
	s_mov_b32 m0, s68                                          // 000000003E74: BEFC0044
	buffer_load_dword v16, s[12:15], s60 offen lds             // 000000003E78: E0511000 3C030010
	s_add_u32 m0, 0x440, m0                                    // 000000003E80: 807C7CFF 00000440
	buffer_load_dword v17, s[12:15], s60 offen lds             // 000000003E88: E0511000 3C030011
	s_add_u32 m0, 0x440, m0                                    // 000000003E90: 807C7CFF 00000440
	buffer_load_dword v18, s[12:15], s60 offen lds             // 000000003E98: E0511000 3C030012
	s_add_u32 m0, 0x440, m0                                    // 000000003EA0: 807C7CFF 00000440
	buffer_load_dword v19, s[12:15], s60 offen lds             // 000000003EA8: E0511000 3C030013
	s_add_u32 m0, 0x440, m0                                    // 000000003EB0: 807C7CFF 00000440
	buffer_load_dword v20, s[12:15], s60 offen lds             // 000000003EB8: E0511000 3C030014
	s_add_u32 m0, 0x440, m0                                    // 000000003EC0: 807C7CFF 00000440
	buffer_load_dword v21, s[12:15], s60 offen lds             // 000000003EC8: E0511000 3C030015
	s_add_u32 m0, 0x440, m0                                    // 000000003ED0: 807C7CFF 00000440
	buffer_load_dword v22, s[12:15], s60 offen lds             // 000000003ED8: E0511000 3C030016
	s_add_u32 m0, 0x440, m0                                    // 000000003EE0: 807C7CFF 00000440
	buffer_load_dword v23, s[12:15], s60 offen lds             // 000000003EE8: E0511000 3C030017
	s_add_u32 m0, 0x440, m0                                    // 000000003EF0: 807C7CFF 00000440
	buffer_load_dword v24, s[12:15], s60 offen lds             // 000000003EF8: E0511000 3C030018
	s_add_u32 m0, 0x440, m0                                    // 000000003F00: 807C7CFF 00000440
	buffer_load_dword v25, s[12:15], s60 offen lds             // 000000003F08: E0511000 3C030019
	s_add_u32 m0, 0x440, m0                                    // 000000003F10: 807C7CFF 00000440
	buffer_load_dword v26, s[12:15], s60 offen lds             // 000000003F18: E0511000 3C03001A
	s_add_u32 m0, 0x440, m0                                    // 000000003F20: 807C7CFF 00000440
	buffer_load_dword v27, s[12:15], s60 offen lds             // 000000003F28: E0511000 3C03001B
	s_add_i32 s60, s43, s60                                    // 000000003F30: 813C3C2B
	s_mov_b32 m0, s69                                          // 000000003F34: BEFC0045
	buffer_load_dword v16, s[12:15], s60 offen lds             // 000000003F38: E0511000 3C030010
	s_add_u32 m0, 0x440, m0                                    // 000000003F40: 807C7CFF 00000440
	buffer_load_dword v17, s[12:15], s60 offen lds             // 000000003F48: E0511000 3C030011
	s_add_u32 m0, 0x440, m0                                    // 000000003F50: 807C7CFF 00000440
	buffer_load_dword v18, s[12:15], s60 offen lds             // 000000003F58: E0511000 3C030012
	s_add_u32 m0, 0x440, m0                                    // 000000003F60: 807C7CFF 00000440
	buffer_load_dword v19, s[12:15], s60 offen lds             // 000000003F68: E0511000 3C030013
	s_add_u32 m0, 0x440, m0                                    // 000000003F70: 807C7CFF 00000440
	buffer_load_dword v20, s[12:15], s60 offen lds             // 000000003F78: E0511000 3C030014
	s_add_u32 m0, 0x440, m0                                    // 000000003F80: 807C7CFF 00000440
	buffer_load_dword v21, s[12:15], s60 offen lds             // 000000003F88: E0511000 3C030015
	s_add_u32 m0, 0x440, m0                                    // 000000003F90: 807C7CFF 00000440
	buffer_load_dword v22, s[12:15], s60 offen lds             // 000000003F98: E0511000 3C030016
	s_add_u32 m0, 0x440, m0                                    // 000000003FA0: 807C7CFF 00000440
	buffer_load_dword v23, s[12:15], s60 offen lds             // 000000003FA8: E0511000 3C030017
	s_add_u32 m0, 0x440, m0                                    // 000000003FB0: 807C7CFF 00000440
	buffer_load_dword v24, s[12:15], s60 offen lds             // 000000003FB8: E0511000 3C030018
	s_add_u32 m0, 0x440, m0                                    // 000000003FC0: 807C7CFF 00000440
	buffer_load_dword v25, s[12:15], s60 offen lds             // 000000003FC8: E0511000 3C030019
	s_add_u32 m0, 0x440, m0                                    // 000000003FD0: 807C7CFF 00000440
	buffer_load_dword v26, s[12:15], s60 offen lds             // 000000003FD8: E0511000 3C03001A
	s_add_u32 m0, 0x440, m0                                    // 000000003FE0: 807C7CFF 00000440
	buffer_load_dword v27, s[12:15], s60 offen lds             // 000000003FE8: E0511000 3C03001B
	s_add_i32 s60, s43, s60                                    // 000000003FF0: 813C3C2B
	s_waitcnt vmcnt(24)                                        // 000000003FF4: BF8C4F78
	s_barrier                                                  // 000000003FF8: BF8A0000
	s_cmp_lt_i32 s5, 2                                         // 000000003FFC: BF048205
	s_cbranch_scc1 label_035A                                  // 000000004000: BF850019
	s_nop 0                                                    // 000000004004: BF800000
	ds_read_b128 a[0:3], v2                                    // 000000004008: DBFE0000 00000002
	ds_read_b128 a[4:7], v2 offset:32                          // 000000004010: DBFE0020 04000002
	ds_read_b128 a[8:11], v2 offset:64                         // 000000004018: DBFE0040 08000002
	ds_read_b128 a[12:15], v2 offset:96                        // 000000004020: DBFE0060 0C000002
	ds_read_b128 a[16:19], v2 offset:4352                      // 000000004028: DBFE1100 10000002
	ds_read_b128 a[20:23], v2 offset:4384                      // 000000004030: DBFE1120 14000002
	ds_read_b128 a[24:27], v2 offset:4416                      // 000000004038: DBFE1140 18000002
	ds_read_b128 a[28:31], v2 offset:4448                      // 000000004040: DBFE1160 1C000002
	ds_read_b128 a[32:35], v2 offset:8704                      // 000000004048: DBFE2200 20000002
	ds_read_b128 a[36:39], v2 offset:8736                      // 000000004050: DBFE2220 24000002
	ds_read_b128 a[40:43], v2 offset:8768                      // 000000004058: DBFE2240 28000002
	ds_read_b128 a[44:47], v2 offset:8800                      // 000000004060: DBFE2260 2C000002

0000000000004068 <label_035A>:
	s_waitcnt lgkmcnt(0)                                       // 000000004068: BF8CC07F
	s_barrier                                                  // 00000000406C: BF8A0000
	buffer_load_dword v164, v28, s[16:19], s35 offen           // 000000004070: E0501000 2304A41C
	buffer_load_dword v165, v29, s[16:19], s35 offen           // 000000004078: E0501000 2304A51D
	buffer_load_dword v166, v30, s[16:19], s35 offen           // 000000004080: E0501000 2304A61E
	buffer_load_dword v167, v31, s[16:19], s35 offen           // 000000004088: E0501000 2304A71F
	buffer_load_dword v168, v32, s[16:19], s35 offen           // 000000004090: E0501000 2304A820
	buffer_load_dword v169, v33, s[16:19], s35 offen           // 000000004098: E0501000 2304A921
	buffer_load_dword v170, v34, s[16:19], s35 offen           // 0000000040A0: E0501000 2304AA22
	buffer_load_dword v171, v35, s[16:19], s35 offen           // 0000000040A8: E0501000 2304AB23
	s_add_i32 s35, s44, s35                                    // 0000000040B0: 8123232C
	s_waitcnt vmcnt(20)                                        // 0000000040B4: BF8C4F74
	s_barrier                                                  // 0000000040B8: BF8A0000
	s_nop 0                                                    // 0000000040BC: BF800000
	ds_read_b128 a[48:51], v36                                 // 0000000040C0: DBFE0000 30000024
	ds_read_b128 a[52:55], v36 offset:32                       // 0000000040C8: DBFE0020 34000024
	ds_read_b128 a[56:59], v36 offset:64                       // 0000000040D0: DBFE0040 38000024
	ds_read_b128 a[60:63], v36 offset:96                       // 0000000040D8: DBFE0060 3C000024
	ds_read_b128 a[64:67], v36 offset:4352                     // 0000000040E0: DBFE1100 40000024
	ds_read_b128 a[68:71], v36 offset:4384                     // 0000000040E8: DBFE1120 44000024
	ds_read_b128 a[72:75], v36 offset:4416                     // 0000000040F0: DBFE1140 48000024
	ds_read_b128 a[76:79], v36 offset:4448                     // 0000000040F8: DBFE1160 4C000024
	ds_read_b128 a[80:83], v36 offset:8704                     // 000000004100: DBFE2200 50000024
	ds_read_b128 a[84:87], v36 offset:8736                     // 000000004108: DBFE2220 54000024
	ds_read_b128 a[88:91], v36 offset:8768                     // 000000004110: DBFE2240 58000024
	ds_read_b128 a[92:95], v36 offset:8800                     // 000000004118: DBFE2260 5C000024
	buffer_load_dword v172, v28, s[16:19], s35 offen           // 000000004120: E0501000 2304AC1C
	buffer_load_dword v173, v29, s[16:19], s35 offen           // 000000004128: E0501000 2304AD1D
	buffer_load_dword v174, v30, s[16:19], s35 offen           // 000000004130: E0501000 2304AE1E
	buffer_load_dword v175, v31, s[16:19], s35 offen           // 000000004138: E0501000 2304AF1F
	buffer_load_dword v176, v32, s[16:19], s35 offen           // 000000004140: E0501000 2304B020
	buffer_load_dword v177, v33, s[16:19], s35 offen           // 000000004148: E0501000 2304B121
	buffer_load_dword v178, v34, s[16:19], s35 offen           // 000000004150: E0501000 2304B222
	buffer_load_dword v179, v35, s[16:19], s35 offen           // 000000004158: E0501000 2304B323
	s_add_i32 s35, s44, s35                                    // 000000004160: 8123232C
	s_waitcnt vmcnt(8) lgkmcnt(0)                              // 000000004164: BF8C0078
	s_barrier                                                  // 000000004168: BF8A0000
	v_mfma_f32_32x32x8_bf16 v[68:83], a[48:49], a[0:1], 0      // 00000000416C: D3E00044 1A020130
	s_mov_b32 m0, s68                                          // 000000004174: BEFC0044
	buffer_load_dword v16, s[12:15], s60 offen lds             // 000000004178: E0511000 3C030010
	v_perm_b32 v180, v165, v164, s50                           // 000000004180: D1ED00B4 00CB49A5
	v_perm_b32 v184, v165, v164, s49                           // 000000004188: D1ED00B8 00C749A5
	v_perm_b32 v181, v167, v166, s50                           // 000000004190: D1ED00B5 00CB4DA7
	v_perm_b32 v185, v167, v166, s49                           // 000000004198: D1ED00B9 00C74DA7
	v_mfma_f32_32x32x8_bf16 v[68:83], a[50:51], a[2:3], v[68:83]// 0000000041A0: D3E00044 1D120532
	v_perm_b32 v182, v169, v168, s50                           // 0000000041A8: D1ED00B6 00CB51A9
	v_perm_b32 v186, v169, v168, s49                           // 0000000041B0: D1ED00BA 00C751A9
	v_perm_b32 v183, v171, v170, s50                           // 0000000041B8: D1ED00B7 00CB55AB
	v_perm_b32 v187, v171, v170, s49                           // 0000000041C0: D1ED00BB 00C755AB
	v_mfma_f32_32x32x8_bf16 v[68:83], a[52:53], a[4:5], v[68:83]// 0000000041C8: D3E00044 1D120934
	s_add_u32 m0, 0x440, m0                                    // 0000000041D0: 807C7CFF 00000440
	buffer_load_dword v17, s[12:15], s60 offen lds             // 0000000041D8: E0511000 3C030011
	v_mfma_f32_32x32x8_bf16 v[68:83], a[54:55], a[6:7], v[68:83]// 0000000041E0: D3E00044 1D120D36
	ds_write_b128 v38, v[180:183] offset:26112                 // 0000000041E8: D9BE6600 0000B426
	ds_write_b128 v38, v[184:187] offset:30272                 // 0000000041F0: D9BE7640 0000B826
	v_mfma_f32_32x32x8_bf16 v[68:83], a[56:57], a[8:9], v[68:83]// 0000000041F8: D3E00044 1D121138
	s_add_u32 m0, 0x440, m0                                    // 000000004200: 807C7CFF 00000440
	buffer_load_dword v18, s[12:15], s60 offen lds             // 000000004208: E0511000 3C030012
	v_mfma_f32_32x32x8_bf16 v[68:83], a[58:59], a[10:11], v[68:83]// 000000004210: D3E00044 1D12153A
	ds_read_b128 a[96:99], v36 offset:13056                    // 000000004218: DBFE3300 60000024
	ds_read_b128 a[100:103], v36 offset:13088                  // 000000004220: DBFE3320 64000024
	v_mfma_f32_32x32x8_bf16 v[68:83], a[60:61], a[12:13], v[68:83]// 000000004228: D3E00044 1D12193C
	s_add_u32 m0, 0x440, m0                                    // 000000004230: 807C7CFF 00000440
	buffer_load_dword v19, s[12:15], s60 offen lds             // 000000004238: E0511000 3C030013
	v_mfma_f32_32x32x8_bf16 v[68:83], a[62:63], a[14:15], v[68:83]// 000000004240: D3E00044 1D121D3E
	ds_read_b128 a[104:107], v36 offset:13120                  // 000000004248: DBFE3340 68000024
	ds_read_b128 a[108:111], v36 offset:13152                  // 000000004250: DBFE3360 6C000024
	v_mfma_f32_32x32x8_bf16 v[68:83], a[64:65], a[16:17], v[68:83]// 000000004258: D3E00044 1D122140
	s_add_u32 m0, 0x440, m0                                    // 000000004260: 807C7CFF 00000440
	buffer_load_dword v20, s[12:15], s60 offen lds             // 000000004268: E0511000 3C030014
	v_mfma_f32_32x32x8_bf16 v[68:83], a[66:67], a[18:19], v[68:83]// 000000004270: D3E00044 1D122542
	ds_read_b128 a[112:115], v36 offset:17408                  // 000000004278: DBFE4400 70000024
	ds_read_b128 a[116:119], v36 offset:17440                  // 000000004280: DBFE4420 74000024
	v_mfma_f32_32x32x8_bf16 v[68:83], a[68:69], a[20:21], v[68:83]// 000000004288: D3E00044 1D122944
	s_add_u32 m0, 0x440, m0                                    // 000000004290: 807C7CFF 00000440
	buffer_load_dword v21, s[12:15], s60 offen lds             // 000000004298: E0511000 3C030015
	v_mfma_f32_32x32x8_bf16 v[68:83], a[70:71], a[22:23], v[68:83]// 0000000042A0: D3E00044 1D122D46
	ds_read_b128 a[120:123], v36 offset:17472                  // 0000000042A8: DBFE4440 78000024
	ds_read_b128 a[124:127], v36 offset:17504                  // 0000000042B0: DBFE4460 7C000024
	v_mfma_f32_32x32x8_bf16 v[68:83], a[72:73], a[24:25], v[68:83]// 0000000042B8: D3E00044 1D123148
	s_add_u32 m0, 0x440, m0                                    // 0000000042C0: 807C7CFF 00000440
	buffer_load_dword v22, s[12:15], s60 offen lds             // 0000000042C8: E0511000 3C030016
	v_mfma_f32_32x32x8_bf16 v[68:83], a[74:75], a[26:27], v[68:83]// 0000000042D0: D3E00044 1D12354A
	ds_read_b128 a[128:131], v36 offset:21760                  // 0000000042D8: DBFE5500 80000024
	ds_read_b128 a[132:135], v36 offset:21792                  // 0000000042E0: DBFE5520 84000024
	v_mfma_f32_32x32x8_bf16 v[68:83], a[76:77], a[28:29], v[68:83]// 0000000042E8: D3E00044 1D12394C
	s_add_u32 m0, 0x440, m0                                    // 0000000042F0: 807C7CFF 00000440
	buffer_load_dword v23, s[12:15], s60 offen lds             // 0000000042F8: E0511000 3C030017
	v_mfma_f32_32x32x8_bf16 v[68:83], a[78:79], a[30:31], v[68:83]// 000000004300: D3E00044 1D123D4E
	ds_read_b128 a[136:139], v36 offset:21824                  // 000000004308: DBFE5540 88000024
	ds_read_b128 a[140:143], v36 offset:21856                  // 000000004310: DBFE5560 8C000024
	v_mfma_f32_32x32x8_bf16 v[68:83], a[80:81], a[32:33], v[68:83]// 000000004318: D3E00044 1D124150
	s_add_u32 m0, 0x440, m0                                    // 000000004320: 807C7CFF 00000440
	buffer_load_dword v24, s[12:15], s60 offen lds             // 000000004328: E0511000 3C030018
	v_mfma_f32_32x32x8_bf16 v[68:83], a[82:83], a[34:35], v[68:83]// 000000004330: D3E00044 1D124552
	v_mfma_f32_32x32x8_bf16 v[68:83], a[84:85], a[36:37], v[68:83]// 000000004338: D3E00044 1D124954
	s_add_u32 m0, 0x440, m0                                    // 000000004340: 807C7CFF 00000440
	buffer_load_dword v25, s[12:15], s60 offen lds             // 000000004348: E0511000 3C030019
	v_mfma_f32_32x32x8_bf16 v[68:83], a[86:87], a[38:39], v[68:83]// 000000004350: D3E00044 1D124D56
	v_mfma_f32_32x32x8_bf16 v[68:83], a[88:89], a[40:41], v[68:83]// 000000004358: D3E00044 1D125158
	s_add_u32 m0, 0x440, m0                                    // 000000004360: 807C7CFF 00000440
	buffer_load_dword v26, s[12:15], s60 offen lds             // 000000004368: E0511000 3C03001A
	v_mfma_f32_32x32x8_bf16 v[68:83], a[90:91], a[42:43], v[68:83]// 000000004370: D3E00044 1D12555A
	v_mfma_f32_32x32x8_bf16 v[68:83], a[92:93], a[44:45], v[68:83]// 000000004378: D3E00044 1D12595C
	s_add_u32 m0, 0x440, m0                                    // 000000004380: 807C7CFF 00000440
	buffer_load_dword v27, s[12:15], s60 offen lds             // 000000004388: E0511000 3C03001B
	v_mfma_f32_32x32x8_bf16 v[68:83], a[94:95], a[46:47], v[68:83]// 000000004390: D3E00044 1D125D5E
	s_add_i32 s60, s43, s60                                    // 000000004398: 813C3C2B
	s_waitcnt vmcnt(12) lgkmcnt(0)                             // 00000000439C: BF8C007C
	s_barrier                                                  // 0000000043A0: BF8A0000
	v_perm_b32 v188, v173, v172, s50                           // 0000000043A4: D1ED00BC 00CB59AD
	v_perm_b32 v192, v173, v172, s49                           // 0000000043AC: D1ED00C0 00C759AD
	v_perm_b32 v189, v175, v174, s50                           // 0000000043B4: D1ED00BD 00CB5DAF
	v_perm_b32 v193, v175, v174, s49                           // 0000000043BC: D1ED00C1 00C75DAF
	v_perm_b32 v190, v177, v176, s50                           // 0000000043C4: D1ED00BE 00CB61B1
	v_perm_b32 v194, v177, v176, s49                           // 0000000043CC: D1ED00C2 00C761B1
	v_perm_b32 v191, v179, v178, s50                           // 0000000043D4: D1ED00BF 00CB65B3
	v_perm_b32 v195, v179, v178, s49                           // 0000000043DC: D1ED00C3 00C765B3
	buffer_load_dword v164, v28, s[16:19], s35 offen           // 0000000043E4: E0501000 2304A41C
	buffer_load_dword v165, v29, s[16:19], s35 offen           // 0000000043EC: E0501000 2304A51D
	buffer_load_dword v166, v30, s[16:19], s35 offen           // 0000000043F4: E0501000 2304A61E
	buffer_load_dword v167, v31, s[16:19], s35 offen           // 0000000043FC: E0501000 2304A71F
	buffer_load_dword v168, v32, s[16:19], s35 offen           // 000000004404: E0501000 2304A820
	buffer_load_dword v169, v33, s[16:19], s35 offen           // 00000000440C: E0501000 2304A921
	buffer_load_dword v170, v34, s[16:19], s35 offen           // 000000004414: E0501000 2304AA22
	buffer_load_dword v171, v35, s[16:19], s35 offen           // 00000000441C: E0501000 2304AB23
	s_add_i32 s35, s44, s35                                    // 000000004424: 8123232C
	ds_read_b128 a[144:147], v37 offset:26112                  // 000000004428: DBFE6600 90000025
	ds_read_b128 a[148:151], v37 offset:28160                  // 000000004430: DBFE6E00 94000025
	ds_read_b128 a[152:155], v37 offset:26368                  // 000000004438: DBFE6700 98000025
	ds_read_b128 a[156:159], v37 offset:28416                  // 000000004440: DBFE6F00 9C000025
	ds_read_b128 a[160:163], v37 offset:26624                  // 000000004448: DBFE6800 A0000025
	ds_read_b128 a[164:167], v37 offset:28672                  // 000000004450: DBFE7000 A4000025
	ds_read_b128 a[168:171], v37 offset:26880                  // 000000004458: DBFE6900 A8000025
	ds_read_b128 a[172:175], v37 offset:28928                  // 000000004460: DBFE7100 AC000025
	s_nop 0                                                    // 000000004468: BF800000
	s_cmp_lt_i32 s52, s51                                      // 00000000446C: BF043334
	s_cbranch_scc1 label_04EA                                  // 000000004470: BF85008D
	s_nop 0                                                    // 000000004474: BF800000
	s_sub_i32 s40, s51, s52                                    // 000000004478: 81A83433
	s_sub_i32 s41, s7, s30                                     // 00000000447C: 81A91E07
	s_and_b32 s41, s41, 31                                     // 000000004480: 86299F29
	s_add_i32 s40, s40, s41                                    // 000000004484: 81282928
	v_add_i32 v40, v53, s40                                    // 000000004488: D29C0028 00005135
	v_cmp_lt_i32_e64 s[72:73], v40, 0                          // 000000004490: D0C10048 00010128
	v_cmp_lt_i32_e64 s[74:75], v40, 1                          // 000000004498: D0C1004A 00010328
	v_cndmask_b32_e64 v68, v68, v55, s[72:73]                  // 0000000044A0: D1000044 01226F44
	v_cndmask_b32_e64 v69, v69, v55, s[74:75]                  // 0000000044A8: D1000045 012A6F45
	v_cmp_lt_i32_e64 s[72:73], v40, 2                          // 0000000044B0: D0C10048 00010528
	v_cmp_lt_i32_e64 s[74:75], v40, 3                          // 0000000044B8: D0C1004A 00010728
	v_cndmask_b32_e64 v70, v70, v55, s[72:73]                  // 0000000044C0: D1000046 01226F46
	v_cndmask_b32_e64 v71, v71, v55, s[74:75]                  // 0000000044C8: D1000047 012A6F47
	v_cmp_lt_i32_e64 s[72:73], v40, 8                          // 0000000044D0: D0C10048 00011128
	v_cmp_lt_i32_e64 s[74:75], v40, 9                          // 0000000044D8: D0C1004A 00011328
	v_cndmask_b32_e64 v72, v72, v55, s[72:73]                  // 0000000044E0: D1000048 01226F48
	v_cndmask_b32_e64 v73, v73, v55, s[74:75]                  // 0000000044E8: D1000049 012A6F49
	v_cmp_lt_i32_e64 s[72:73], v40, 10                         // 0000000044F0: D0C10048 00011528
	v_cmp_lt_i32_e64 s[74:75], v40, 11                         // 0000000044F8: D0C1004A 00011728
	v_cndmask_b32_e64 v74, v74, v55, s[72:73]                  // 000000004500: D100004A 01226F4A
	v_cndmask_b32_e64 v75, v75, v55, s[74:75]                  // 000000004508: D100004B 012A6F4B
	v_cmp_lt_i32_e64 s[72:73], v40, 16                         // 000000004510: D0C10048 00012128
	v_cmp_lt_i32_e64 s[74:75], v40, 17                         // 000000004518: D0C1004A 00012328
	v_cndmask_b32_e64 v76, v76, v55, s[72:73]                  // 000000004520: D100004C 01226F4C
	v_cndmask_b32_e64 v77, v77, v55, s[74:75]                  // 000000004528: D100004D 012A6F4D
	v_cmp_lt_i32_e64 s[72:73], v40, 18                         // 000000004530: D0C10048 00012528
	v_cmp_lt_i32_e64 s[74:75], v40, 19                         // 000000004538: D0C1004A 00012728
	v_cndmask_b32_e64 v78, v78, v55, s[72:73]                  // 000000004540: D100004E 01226F4E
	v_cndmask_b32_e64 v79, v79, v55, s[74:75]                  // 000000004548: D100004F 012A6F4F
	v_cmp_lt_i32_e64 s[72:73], v40, 24                         // 000000004550: D0C10048 00013128
	v_cmp_lt_i32_e64 s[74:75], v40, 25                         // 000000004558: D0C1004A 00013328
	v_cndmask_b32_e64 v80, v80, v55, s[72:73]                  // 000000004560: D1000050 01226F50
	v_cndmask_b32_e64 v81, v81, v55, s[74:75]                  // 000000004568: D1000051 012A6F51
	v_cmp_lt_i32_e64 s[72:73], v40, 26                         // 000000004570: D0C10048 00013528
	v_cmp_lt_i32_e64 s[74:75], v40, 27                         // 000000004578: D0C1004A 00013728
	v_cndmask_b32_e64 v82, v82, v55, s[72:73]                  // 000000004580: D1000052 01226F52
	v_cndmask_b32_e64 v83, v83, v55, s[74:75]                  // 000000004588: D1000053 012A6F53
	s_nop 0                                                    // 000000004590: BF800000
	s_cmp_lt_i32 s52, s54                                      // 000000004594: BF043634
	s_cbranch_scc1 label_04EA                                  // 000000004598: BF850043
	s_sub_i32 s40, s7, s52                                     // 00000000459C: 81A83407
	v_sub_i32 v40, s40, v54                                    // 0000000045A0: D29D0028 00026C28
	v_cmp_lt_i32_e64 s[72:73], 0, v40                          // 0000000045A8: D0C10048 00025080
	v_cmp_lt_i32_e64 s[74:75], 1, v40                          // 0000000045B0: D0C1004A 00025081
	v_cndmask_b32_e64 v68, v55, v68, s[72:73]                  // 0000000045B8: D1000044 01228937
	v_cndmask_b32_e64 v69, v55, v69, s[74:75]                  // 0000000045C0: D1000045 012A8B37
	v_cmp_lt_i32_e64 s[72:73], 2, v40                          // 0000000045C8: D0C10048 00025082
	v_cmp_lt_i32_e64 s[74:75], 3, v40                          // 0000000045D0: D0C1004A 00025083
	v_cndmask_b32_e64 v70, v55, v70, s[72:73]                  // 0000000045D8: D1000046 01228D37
	v_cndmask_b32_e64 v71, v55, v71, s[74:75]                  // 0000000045E0: D1000047 012A8F37
	v_cmp_lt_i32_e64 s[72:73], 8, v40                          // 0000000045E8: D0C10048 00025088
	v_cmp_lt_i32_e64 s[74:75], 9, v40                          // 0000000045F0: D0C1004A 00025089
	v_cndmask_b32_e64 v72, v55, v72, s[72:73]                  // 0000000045F8: D1000048 01229137
	v_cndmask_b32_e64 v73, v55, v73, s[74:75]                  // 000000004600: D1000049 012A9337
	v_cmp_lt_i32_e64 s[72:73], 10, v40                         // 000000004608: D0C10048 0002508A
	v_cmp_lt_i32_e64 s[74:75], 11, v40                         // 000000004610: D0C1004A 0002508B
	v_cndmask_b32_e64 v74, v55, v74, s[72:73]                  // 000000004618: D100004A 01229537
	v_cndmask_b32_e64 v75, v55, v75, s[74:75]                  // 000000004620: D100004B 012A9737
	v_cmp_lt_i32_e64 s[72:73], 16, v40                         // 000000004628: D0C10048 00025090
	v_cmp_lt_i32_e64 s[74:75], 17, v40                         // 000000004630: D0C1004A 00025091
	v_cndmask_b32_e64 v76, v55, v76, s[72:73]                  // 000000004638: D100004C 01229937
	v_cndmask_b32_e64 v77, v55, v77, s[74:75]                  // 000000004640: D100004D 012A9B37
	v_cmp_lt_i32_e64 s[72:73], 18, v40                         // 000000004648: D0C10048 00025092
	v_cmp_lt_i32_e64 s[74:75], 19, v40                         // 000000004650: D0C1004A 00025093
	v_cndmask_b32_e64 v78, v55, v78, s[72:73]                  // 000000004658: D100004E 01229D37
	v_cndmask_b32_e64 v79, v55, v79, s[74:75]                  // 000000004660: D100004F 012A9F37
	v_cmp_lt_i32_e64 s[72:73], 24, v40                         // 000000004668: D0C10048 00025098
	v_cmp_lt_i32_e64 s[74:75], 25, v40                         // 000000004670: D0C1004A 00025099
	v_cndmask_b32_e64 v80, v55, v80, s[72:73]                  // 000000004678: D1000050 0122A137
	v_cndmask_b32_e64 v81, v55, v81, s[74:75]                  // 000000004680: D1000051 012AA337
	v_cmp_lt_i32_e64 s[72:73], 26, v40                         // 000000004688: D0C10048 0002509A
	v_cmp_lt_i32_e64 s[74:75], 27, v40                         // 000000004690: D0C1004A 0002509B
	v_cndmask_b32_e64 v82, v55, v82, s[72:73]                  // 000000004698: D1000052 0122A537
	v_cndmask_b32_e64 v83, v55, v83, s[74:75]                  // 0000000046A0: D1000053 012AA737

00000000000046a8 <label_04EA>:
	v_max3_f32 v49, v68, v69, v52                              // 0000000046A8: D1D30031 04D28B44
	v_max3_f32 v49, v70, v71, v49                              // 0000000046B0: D1D30031 04C68F46
	v_max3_f32 v49, v72, v73, v49                              // 0000000046B8: D1D30031 04C69348
	v_max3_f32 v49, v74, v75, v49                              // 0000000046C0: D1D30031 04C6974A
	v_max3_f32 v49, v76, v77, v49                              // 0000000046C8: D1D30031 04C69B4C
	v_max3_f32 v49, v78, v79, v49                              // 0000000046D0: D1D30031 04C69F4E
	v_max3_f32 v49, v80, v81, v49                              // 0000000046D8: D1D30031 04C6A350
	v_max3_f32 v49, v82, v83, v49                              // 0000000046E0: D1D30031 04C6A752
	ds_permute_b32 v48, v56, v49                               // 0000000046E8: D87C0000 30003138
	s_waitcnt lgkmcnt(0)                                       // 0000000046F0: BF8CC07F
	s_nop 0                                                    // 0000000046F4: BF800000
	v_max_f32_e32 v49, v48, v49                                // 0000000046F8: 16626330
	v_mov_b32_e32 v44, 0                                       // 0000000046FC: 7E580280
	v_mov_b32_e32 v52, v49                                     // 000000004700: 7E680331
	v_mul_f32_e32 v51, s56, v49                                // 000000004704: 0A666238
	v_mul_f32_e32 v44, s56, v44                                // 000000004708: 0A585838
	v_exp_f32_e32 v44, v44                                     // 00000000470C: 7E58412C
	v_add_f32_e64 v60, 0, -v51                                 // 000000004710: D101003C 40026680
	v_mov_b32_e32 v61, v60                                     // 000000004718: 7E7A033C
	s_nop 0                                                    // 00000000471C: BF800000
	v_pk_fma_f32 v[68:69], v[68:69], s[56:57], v[60:61]        // 000000004720: D3B04044 1CF07144
	v_pk_fma_f32 v[70:71], v[70:71], s[56:57], v[60:61]        // 000000004728: D3B04046 1CF07146
	v_pk_fma_f32 v[72:73], v[72:73], s[56:57], v[60:61]        // 000000004730: D3B04048 1CF07148
	v_pk_fma_f32 v[74:75], v[74:75], s[56:57], v[60:61]        // 000000004738: D3B0404A 1CF0714A
	v_pk_fma_f32 v[76:77], v[76:77], s[56:57], v[60:61]        // 000000004740: D3B0404C 1CF0714C
	v_pk_fma_f32 v[78:79], v[78:79], s[56:57], v[60:61]        // 000000004748: D3B0404E 1CF0714E
	v_pk_fma_f32 v[80:81], v[80:81], s[56:57], v[60:61]        // 000000004750: D3B04050 1CF07150
	v_pk_fma_f32 v[82:83], v[82:83], s[56:57], v[60:61]        // 000000004758: D3B04052 1CF07152
	s_nop 0                                                    // 000000004760: BF800000
	s_addk_i32 s39, 0x20                                       // 000000004764: B7270020
	s_add_i32 s52, s52, s53                                    // 000000004768: 81343534
	s_cmp_lt_i32 s39, s38                                      // 00000000476C: BF042627
	s_cbranch_scc0 label_0D3A                                  // 000000004770: BF84081D
	s_cmp_lt_i32 s5, 2                                         // 000000004774: BF048205
	s_cbranch_scc0 label_092C                                  // 000000004778: BF84040D

000000000000477c <label_051F>:
	s_waitcnt vmcnt(8) lgkmcnt(8)                              // 00000000477C: BF8C0878
	s_barrier                                                  // 000000004780: BF8A0000
	v_mfma_f32_32x32x8_bf16 v[84:99], a[96:97], a[0:1], 0      // 000000004784: D3E00054 1A020160
	s_mov_b32 m0, s69                                          // 00000000478C: BEFC0045
	buffer_load_dword v16, s[12:15], s60 offen lds             // 000000004790: E0511000 3C030010
	ds_write_b128 v38, v[188:191] offset:34432                 // 000000004798: D9BE8680 0000BC26
	v_mfma_f32_32x32x8_bf16 v[84:99], a[98:99], a[2:3], v[84:99]// 0000000047A0: D3E00054 1D520562
	v_mfma_f32_32x32x8_bf16 v[84:99], a[100:101], a[4:5], v[84:99]// 0000000047A8: D3E00054 1D520964
	s_add_u32 m0, 0x440, m0                                    // 0000000047B0: 807C7CFF 00000440
	buffer_load_dword v17, s[12:15], s60 offen lds             // 0000000047B8: E0511000 3C030011
	ds_write_b128 v38, v[192:195] offset:38592                 // 0000000047C0: D9BE96C0 0000C026
	v_mfma_f32_32x32x8_bf16 v[84:99], a[102:103], a[6:7], v[84:99]// 0000000047C8: D3E00054 1D520D66
	v_mfma_f32_32x32x8_bf16 v[84:99], a[104:105], a[8:9], v[84:99]// 0000000047D0: D3E00054 1D521168
	s_add_u32 m0, 0x440, m0                                    // 0000000047D8: 807C7CFF 00000440
	buffer_load_dword v18, s[12:15], s60 offen lds             // 0000000047E0: E0511000 3C030012
	ds_read_b128 a[48:51], v36                                 // 0000000047E8: DBFE0000 30000024
	ds_read_b128 a[52:55], v36 offset:32                       // 0000000047F0: DBFE0020 34000024
	v_mfma_f32_32x32x8_bf16 v[84:99], a[106:107], a[10:11], v[84:99]// 0000000047F8: D3E00054 1D52156A
	v_mfma_f32_32x32x8_bf16 v[84:99], a[108:109], a[12:13], v[84:99]// 000000004800: D3E00054 1D52196C
	s_add_u32 m0, 0x440, m0                                    // 000000004808: 807C7CFF 00000440
	buffer_load_dword v19, s[12:15], s60 offen lds             // 000000004810: E0511000 3C030013
	ds_read_b128 a[56:59], v36 offset:64                       // 000000004818: DBFE0040 38000024
	ds_read_b128 a[60:63], v36 offset:96                       // 000000004820: DBFE0060 3C000024
	v_mfma_f32_32x32x8_bf16 v[84:99], a[110:111], a[14:15], v[84:99]// 000000004828: D3E00054 1D521D6E
	v_mfma_f32_32x32x8_bf16 v[84:99], a[112:113], a[16:17], v[84:99]// 000000004830: D3E00054 1D522170
	s_add_u32 m0, 0x440, m0                                    // 000000004838: 807C7CFF 00000440
	buffer_load_dword v20, s[12:15], s60 offen lds             // 000000004840: E0511000 3C030014
	ds_read_b128 a[64:67], v36 offset:4352                     // 000000004848: DBFE1100 40000024
	ds_read_b128 a[68:71], v36 offset:4384                     // 000000004850: DBFE1120 44000024
	v_mfma_f32_32x32x8_bf16 v[84:99], a[114:115], a[18:19], v[84:99]// 000000004858: D3E00054 1D522572
	v_mfma_f32_32x32x8_bf16 v[84:99], a[116:117], a[20:21], v[84:99]// 000000004860: D3E00054 1D522974
	s_add_u32 m0, 0x440, m0                                    // 000000004868: 807C7CFF 00000440
	buffer_load_dword v21, s[12:15], s60 offen lds             // 000000004870: E0511000 3C030015
	ds_read_b128 a[72:75], v36 offset:4416                     // 000000004878: DBFE1140 48000024
	ds_read_b128 a[76:79], v36 offset:4448                     // 000000004880: DBFE1160 4C000024
	v_mfma_f32_32x32x8_bf16 v[84:99], a[118:119], a[22:23], v[84:99]// 000000004888: D3E00054 1D522D76
	v_mfma_f32_32x32x8_bf16 v[84:99], a[120:121], a[24:25], v[84:99]// 000000004890: D3E00054 1D523178
	s_add_u32 m0, 0x440, m0                                    // 000000004898: 807C7CFF 00000440
	buffer_load_dword v22, s[12:15], s60 offen lds             // 0000000048A0: E0511000 3C030016
	ds_read_b128 a[80:83], v36 offset:8704                     // 0000000048A8: DBFE2200 50000024
	ds_read_b128 a[84:87], v36 offset:8736                     // 0000000048B0: DBFE2220 54000024
	v_mfma_f32_32x32x8_bf16 v[84:99], a[122:123], a[26:27], v[84:99]// 0000000048B8: D3E00054 1D52357A
	v_mfma_f32_32x32x8_bf16 v[84:99], a[124:125], a[28:29], v[84:99]// 0000000048C0: D3E00054 1D52397C
	s_add_u32 m0, 0x440, m0                                    // 0000000048C8: 807C7CFF 00000440
	buffer_load_dword v23, s[12:15], s60 offen lds             // 0000000048D0: E0511000 3C030017
	ds_read_b128 a[88:91], v36 offset:8768                     // 0000000048D8: DBFE2240 58000024
	ds_read_b128 a[92:95], v36 offset:8800                     // 0000000048E0: DBFE2260 5C000024
	v_mfma_f32_32x32x8_bf16 v[84:99], a[126:127], a[30:31], v[84:99]// 0000000048E8: D3E00054 1D523D7E
	v_mfma_f32_32x32x8_bf16 v[84:99], a[128:129], a[32:33], v[84:99]// 0000000048F0: D3E00054 1D524180
	s_add_u32 m0, 0x440, m0                                    // 0000000048F8: 807C7CFF 00000440
	buffer_load_dword v24, s[12:15], s60 offen lds             // 000000004900: E0511000 3C030018
	v_mfma_f32_32x32x8_bf16 v[84:99], a[130:131], a[34:35], v[84:99]// 000000004908: D3E00054 1D524582
	v_mfma_f32_32x32x8_bf16 v[84:99], a[132:133], a[36:37], v[84:99]// 000000004910: D3E00054 1D524984
	s_add_u32 m0, 0x440, m0                                    // 000000004918: 807C7CFF 00000440
	buffer_load_dword v25, s[12:15], s60 offen lds             // 000000004920: E0511000 3C030019
	v_mfma_f32_32x32x8_bf16 v[84:99], a[134:135], a[38:39], v[84:99]// 000000004928: D3E00054 1D524D86
	v_mfma_f32_32x32x8_bf16 v[84:99], a[136:137], a[40:41], v[84:99]// 000000004930: D3E00054 1D525188
	s_add_u32 m0, 0x440, m0                                    // 000000004938: 807C7CFF 00000440
	buffer_load_dword v26, s[12:15], s60 offen lds             // 000000004940: E0511000 3C03001A
	v_mfma_f32_32x32x8_bf16 v[84:99], a[138:139], a[42:43], v[84:99]// 000000004948: D3E00054 1D52558A
	v_mfma_f32_32x32x8_bf16 v[84:99], a[140:141], a[44:45], v[84:99]// 000000004950: D3E00054 1D52598C
	s_add_u32 m0, 0x440, m0                                    // 000000004958: 807C7CFF 00000440
	buffer_load_dword v27, s[12:15], s60 offen lds             // 000000004960: E0511000 3C03001B
	s_nop 0                                                    // 000000004968: BF800000
	v_exp_f32_e32 v68, v68                                     // 00000000496C: 7E884144
	v_exp_f32_e32 v69, v69                                     // 000000004970: 7E8A4145
	v_exp_f32_e32 v70, v70                                     // 000000004974: 7E8C4146
	v_exp_f32_e32 v71, v71                                     // 000000004978: 7E8E4147
	v_exp_f32_e32 v72, v72                                     // 00000000497C: 7E904148
	v_exp_f32_e32 v73, v73                                     // 000000004980: 7E924149
	v_exp_f32_e32 v74, v74                                     // 000000004984: 7E94414A
	v_exp_f32_e32 v75, v75                                     // 000000004988: 7E96414B
	v_exp_f32_e32 v76, v76                                     // 00000000498C: 7E98414C
	v_exp_f32_e32 v77, v77                                     // 000000004990: 7E9A414D
	v_exp_f32_e32 v78, v78                                     // 000000004994: 7E9C414E
	v_exp_f32_e32 v79, v79                                     // 000000004998: 7E9E414F
	v_exp_f32_e32 v80, v80                                     // 00000000499C: 7EA04150
	v_exp_f32_e32 v81, v81                                     // 0000000049A0: 7EA24151
	v_exp_f32_e32 v82, v82                                     // 0000000049A4: 7EA44152
	v_exp_f32_e32 v83, v83                                     // 0000000049A8: 7EA64153
	v_mul_f32_e32 v46, v44, v46                                // 0000000049AC: 0A5C5D2C
	v_pk_add_f32 v[62:63], v[68:69], v[70:71]                  // 0000000049B0: D3B2403E 18028D44
	v_pk_add_f32 v[62:63], v[72:73], v[62:63]                  // 0000000049B8: D3B2403E 18027D48
	v_pk_add_f32 v[62:63], v[74:75], v[62:63]                  // 0000000049C0: D3B2403E 18027D4A
	v_pk_add_f32 v[62:63], v[76:77], v[62:63]                  // 0000000049C8: D3B2403E 18027D4C
	v_pk_add_f32 v[62:63], v[78:79], v[62:63]                  // 0000000049D0: D3B2403E 18027D4E
	v_pk_add_f32 v[62:63], v[80:81], v[62:63]                  // 0000000049D8: D3B2403E 18027D50
	v_pk_add_f32 v[62:63], v[82:83], v[62:63]                  // 0000000049E0: D3B2403E 18027D52
	v_add_f32_e32 v62, v62, v63                                // 0000000049E8: 027C7F3E
	v_add_f32_e32 v46, v62, v46                                // 0000000049EC: 025C5D3E
	v_perm_b32 v68, v69, v68, s49                              // 0000000049F0: D1ED0044 00C68945
	v_perm_b32 v69, v71, v70, s49                              // 0000000049F8: D1ED0045 00C68D47
	v_perm_b32 v70, v73, v72, s49                              // 000000004A00: D1ED0046 00C69149
	v_perm_b32 v71, v75, v74, s49                              // 000000004A08: D1ED0047 00C6954B
	v_perm_b32 v72, v77, v76, s49                              // 000000004A10: D1ED0048 00C6994D
	v_perm_b32 v73, v79, v78, s49                              // 000000004A18: D1ED0049 00C69D4F
	v_perm_b32 v74, v81, v80, s49                              // 000000004A20: D1ED004A 00C6A151
	v_perm_b32 v75, v83, v82, s49                              // 000000004A28: D1ED004B 00C6A553
	v_mfma_f32_32x32x8_bf16 v[84:99], a[142:143], a[46:47], v[84:99]// 000000004A30: D3E00054 1D525D8E
	s_add_i32 s60, s43, s60                                    // 000000004A38: 813C3C2B
	s_cmp_lt_i32 s52, s51                                      // 000000004A3C: BF043334
	s_cbranch_scc1 label_065E                                  // 000000004A40: BF85008D
	s_nop 0                                                    // 000000004A44: BF800000
	s_sub_i32 s40, s51, s52                                    // 000000004A48: 81A83433
	s_sub_i32 s41, s7, s30                                     // 000000004A4C: 81A91E07
	s_and_b32 s41, s41, 31                                     // 000000004A50: 86299F29
	s_add_i32 s40, s40, s41                                    // 000000004A54: 81282928
	v_add_i32 v40, v53, s40                                    // 000000004A58: D29C0028 00005135
	v_cmp_lt_i32_e64 s[72:73], v40, 0                          // 000000004A60: D0C10048 00010128
	v_cmp_lt_i32_e64 s[74:75], v40, 1                          // 000000004A68: D0C1004A 00010328
	v_cndmask_b32_e64 v84, v84, v55, s[72:73]                  // 000000004A70: D1000054 01226F54
	v_cndmask_b32_e64 v85, v85, v55, s[74:75]                  // 000000004A78: D1000055 012A6F55
	v_cmp_lt_i32_e64 s[72:73], v40, 2                          // 000000004A80: D0C10048 00010528
	v_cmp_lt_i32_e64 s[74:75], v40, 3                          // 000000004A88: D0C1004A 00010728
	v_cndmask_b32_e64 v86, v86, v55, s[72:73]                  // 000000004A90: D1000056 01226F56
	v_cndmask_b32_e64 v87, v87, v55, s[74:75]                  // 000000004A98: D1000057 012A6F57
	v_cmp_lt_i32_e64 s[72:73], v40, 8                          // 000000004AA0: D0C10048 00011128
	v_cmp_lt_i32_e64 s[74:75], v40, 9                          // 000000004AA8: D0C1004A 00011328
	v_cndmask_b32_e64 v88, v88, v55, s[72:73]                  // 000000004AB0: D1000058 01226F58
	v_cndmask_b32_e64 v89, v89, v55, s[74:75]                  // 000000004AB8: D1000059 012A6F59
	v_cmp_lt_i32_e64 s[72:73], v40, 10                         // 000000004AC0: D0C10048 00011528
	v_cmp_lt_i32_e64 s[74:75], v40, 11                         // 000000004AC8: D0C1004A 00011728
	v_cndmask_b32_e64 v90, v90, v55, s[72:73]                  // 000000004AD0: D100005A 01226F5A
	v_cndmask_b32_e64 v91, v91, v55, s[74:75]                  // 000000004AD8: D100005B 012A6F5B
	v_cmp_lt_i32_e64 s[72:73], v40, 16                         // 000000004AE0: D0C10048 00012128
	v_cmp_lt_i32_e64 s[74:75], v40, 17                         // 000000004AE8: D0C1004A 00012328
	v_cndmask_b32_e64 v92, v92, v55, s[72:73]                  // 000000004AF0: D100005C 01226F5C
	v_cndmask_b32_e64 v93, v93, v55, s[74:75]                  // 000000004AF8: D100005D 012A6F5D
	v_cmp_lt_i32_e64 s[72:73], v40, 18                         // 000000004B00: D0C10048 00012528
	v_cmp_lt_i32_e64 s[74:75], v40, 19                         // 000000004B08: D0C1004A 00012728
	v_cndmask_b32_e64 v94, v94, v55, s[72:73]                  // 000000004B10: D100005E 01226F5E
	v_cndmask_b32_e64 v95, v95, v55, s[74:75]                  // 000000004B18: D100005F 012A6F5F
	v_cmp_lt_i32_e64 s[72:73], v40, 24                         // 000000004B20: D0C10048 00013128
	v_cmp_lt_i32_e64 s[74:75], v40, 25                         // 000000004B28: D0C1004A 00013328
	v_cndmask_b32_e64 v96, v96, v55, s[72:73]                  // 000000004B30: D1000060 01226F60
	v_cndmask_b32_e64 v97, v97, v55, s[74:75]                  // 000000004B38: D1000061 012A6F61
	v_cmp_lt_i32_e64 s[72:73], v40, 26                         // 000000004B40: D0C10048 00013528
	v_cmp_lt_i32_e64 s[74:75], v40, 27                         // 000000004B48: D0C1004A 00013728
	v_cndmask_b32_e64 v98, v98, v55, s[72:73]                  // 000000004B50: D1000062 01226F62
	v_cndmask_b32_e64 v99, v99, v55, s[74:75]                  // 000000004B58: D1000063 012A6F63
	s_nop 0                                                    // 000000004B60: BF800000
	s_cmp_lt_i32 s52, s54                                      // 000000004B64: BF043634
	s_cbranch_scc1 label_065E                                  // 000000004B68: BF850043
	s_sub_i32 s40, s7, s52                                     // 000000004B6C: 81A83407
	v_sub_i32 v40, s40, v54                                    // 000000004B70: D29D0028 00026C28
	v_cmp_lt_i32_e64 s[72:73], 0, v40                          // 000000004B78: D0C10048 00025080
	v_cmp_lt_i32_e64 s[74:75], 1, v40                          // 000000004B80: D0C1004A 00025081
	v_cndmask_b32_e64 v84, v55, v84, s[72:73]                  // 000000004B88: D1000054 0122A937
	v_cndmask_b32_e64 v85, v55, v85, s[74:75]                  // 000000004B90: D1000055 012AAB37
	v_cmp_lt_i32_e64 s[72:73], 2, v40                          // 000000004B98: D0C10048 00025082
	v_cmp_lt_i32_e64 s[74:75], 3, v40                          // 000000004BA0: D0C1004A 00025083
	v_cndmask_b32_e64 v86, v55, v86, s[72:73]                  // 000000004BA8: D1000056 0122AD37
	v_cndmask_b32_e64 v87, v55, v87, s[74:75]                  // 000000004BB0: D1000057 012AAF37
	v_cmp_lt_i32_e64 s[72:73], 8, v40                          // 000000004BB8: D0C10048 00025088
	v_cmp_lt_i32_e64 s[74:75], 9, v40                          // 000000004BC0: D0C1004A 00025089
	v_cndmask_b32_e64 v88, v55, v88, s[72:73]                  // 000000004BC8: D1000058 0122B137
	v_cndmask_b32_e64 v89, v55, v89, s[74:75]                  // 000000004BD0: D1000059 012AB337
	v_cmp_lt_i32_e64 s[72:73], 10, v40                         // 000000004BD8: D0C10048 0002508A
	v_cmp_lt_i32_e64 s[74:75], 11, v40                         // 000000004BE0: D0C1004A 0002508B
	v_cndmask_b32_e64 v90, v55, v90, s[72:73]                  // 000000004BE8: D100005A 0122B537
	v_cndmask_b32_e64 v91, v55, v91, s[74:75]                  // 000000004BF0: D100005B 012AB737
	v_cmp_lt_i32_e64 s[72:73], 16, v40                         // 000000004BF8: D0C10048 00025090
	v_cmp_lt_i32_e64 s[74:75], 17, v40                         // 000000004C00: D0C1004A 00025091
	v_cndmask_b32_e64 v92, v55, v92, s[72:73]                  // 000000004C08: D100005C 0122B937
	v_cndmask_b32_e64 v93, v55, v93, s[74:75]                  // 000000004C10: D100005D 012ABB37
	v_cmp_lt_i32_e64 s[72:73], 18, v40                         // 000000004C18: D0C10048 00025092
	v_cmp_lt_i32_e64 s[74:75], 19, v40                         // 000000004C20: D0C1004A 00025093
	v_cndmask_b32_e64 v94, v55, v94, s[72:73]                  // 000000004C28: D100005E 0122BD37
	v_cndmask_b32_e64 v95, v55, v95, s[74:75]                  // 000000004C30: D100005F 012ABF37
	v_cmp_lt_i32_e64 s[72:73], 24, v40                         // 000000004C38: D0C10048 00025098
	v_cmp_lt_i32_e64 s[74:75], 25, v40                         // 000000004C40: D0C1004A 00025099
	v_cndmask_b32_e64 v96, v55, v96, s[72:73]                  // 000000004C48: D1000060 0122C137
	v_cndmask_b32_e64 v97, v55, v97, s[74:75]                  // 000000004C50: D1000061 012AC337
	v_cmp_lt_i32_e64 s[72:73], 26, v40                         // 000000004C58: D0C10048 0002509A
	v_cmp_lt_i32_e64 s[74:75], 27, v40                         // 000000004C60: D0C1004A 0002509B
	v_cndmask_b32_e64 v98, v55, v98, s[72:73]                  // 000000004C68: D1000062 0122C537
	v_cndmask_b32_e64 v99, v55, v99, s[74:75]                  // 000000004C70: D1000063 012AC737

0000000000004c78 <label_065E>:
	s_waitcnt vmcnt(12) lgkmcnt(12)                            // 000000004C78: BF8C0C7C
	s_barrier                                                  // 000000004C7C: BF8A0000
	v_max3_f32 v49, v84, v85, v52                              // 000000004C80: D1D30031 04D2AB54
	v_max3_f32 v49, v86, v87, v49                              // 000000004C88: D1D30031 04C6AF56
	v_max3_f32 v49, v88, v89, v49                              // 000000004C90: D1D30031 04C6B358
	v_max3_f32 v49, v90, v91, v49                              // 000000004C98: D1D30031 04C6B75A
	v_max3_f32 v49, v92, v93, v49                              // 000000004CA0: D1D30031 04C6BB5C
	v_max3_f32 v49, v94, v95, v49                              // 000000004CA8: D1D30031 04C6BF5E
	v_max3_f32 v49, v96, v97, v49                              // 000000004CB0: D1D30031 04C6C360
	v_max3_f32 v49, v98, v99, v49                              // 000000004CB8: D1D30031 04C6C762
	v_mfma_f32_32x32x8_bf16 v[100:115], a[144:145], v[68:69], v[100:115]// 000000004CC0: D3E00064 0D928990
	buffer_load_dword v172, v28, s[16:19], s35 offen           // 000000004CC8: E0501000 2304AC1C
	ds_permute_b32 v48, v56, v49                               // 000000004CD0: D87C0000 30003138
	v_mfma_f32_32x32x8_bf16 v[100:115], a[146:147], v[70:71], v[100:115]// 000000004CD8: D3E00064 0D928D92
	v_mfma_f32_32x32x8_bf16 v[100:115], a[148:149], v[72:73], v[100:115]// 000000004CE0: D3E00064 0D929194
	buffer_load_dword v173, v29, s[16:19], s35 offen           // 000000004CE8: E0501000 2304AD1D
	v_perm_b32 v180, v165, v164, s50                           // 000000004CF0: D1ED00B4 00CB49A5
	v_perm_b32 v184, v165, v164, s49                           // 000000004CF8: D1ED00B8 00C749A5
	v_perm_b32 v181, v167, v166, s50                           // 000000004D00: D1ED00B5 00CB4DA7
	v_perm_b32 v185, v167, v166, s49                           // 000000004D08: D1ED00B9 00C74DA7
	v_perm_b32 v182, v169, v168, s50                           // 000000004D10: D1ED00B6 00CB51A9
	v_perm_b32 v186, v169, v168, s49                           // 000000004D18: D1ED00BA 00C751A9
	v_perm_b32 v183, v171, v170, s50                           // 000000004D20: D1ED00B7 00CB55AB
	v_perm_b32 v187, v171, v170, s49                           // 000000004D28: D1ED00BB 00C755AB
	v_mfma_f32_32x32x8_bf16 v[100:115], a[150:151], v[74:75], v[100:115]// 000000004D30: D3E00064 0D929596
	v_mfma_f32_32x32x8_bf16 v[116:131], a[152:153], v[68:69], v[116:131]// 000000004D38: D3E00074 0DD28998
	buffer_load_dword v174, v30, s[16:19], s35 offen           // 000000004D40: E0501000 2304AE1E
	v_mfma_f32_32x32x8_bf16 v[116:131], a[154:155], v[70:71], v[116:131]// 000000004D48: D3E00074 0DD28D9A
	s_waitcnt lgkmcnt(0)                                       // 000000004D50: BF8CC07F
	s_nop 0                                                    // 000000004D54: BF800000
	v_mfma_f32_32x32x8_bf16 v[116:131], a[156:157], v[72:73], v[116:131]// 000000004D58: D3E00074 0DD2919C
	buffer_load_dword v175, v31, s[16:19], s35 offen           // 000000004D60: E0501000 2304AF1F
	ds_read_b128 a[176:179], v37 offset:34432                  // 000000004D68: DBFE8680 B0000025
	ds_read_b128 a[180:183], v37 offset:36480                  // 000000004D70: DBFE8E80 B4000025
	ds_read_b128 a[184:187], v37 offset:34688                  // 000000004D78: DBFE8780 B8000025
	ds_read_b128 a[188:191], v37 offset:36736                  // 000000004D80: DBFE8F80 BC000025
	v_mfma_f32_32x32x8_bf16 v[116:131], a[158:159], v[74:75], v[116:131]// 000000004D88: D3E00074 0DD2959E
	v_mfma_f32_32x32x8_bf16 v[132:147], a[160:161], v[68:69], v[132:147]// 000000004D90: D3E00084 0E1289A0
	buffer_load_dword v176, v32, s[16:19], s35 offen           // 000000004D98: E0501000 2304B020
	v_mfma_f32_32x32x8_bf16 v[132:147], a[162:163], v[70:71], v[132:147]// 000000004DA0: D3E00084 0E128DA2
	v_mfma_f32_32x32x8_bf16 v[132:147], a[164:165], v[72:73], v[132:147]// 000000004DA8: D3E00084 0E1291A4
	buffer_load_dword v177, v33, s[16:19], s35 offen           // 000000004DB0: E0501000 2304B121
	ds_read_b128 a[192:195], v37 offset:34944                  // 000000004DB8: DBFE8880 C0000025
	ds_read_b128 a[196:199], v37 offset:36992                  // 000000004DC0: DBFE9080 C4000025
	ds_read_b128 a[200:203], v37 offset:35200                  // 000000004DC8: DBFE8980 C8000025
	ds_read_b128 a[204:207], v37 offset:37248                  // 000000004DD0: DBFE9180 CC000025
	v_mfma_f32_32x32x8_bf16 v[132:147], a[166:167], v[74:75], v[132:147]// 000000004DD8: D3E00084 0E1295A6
	v_mfma_f32_32x32x8_bf16 v[148:163], a[168:169], v[68:69], v[148:163]// 000000004DE0: D3E00094 0E5289A8
	buffer_load_dword v178, v34, s[16:19], s35 offen           // 000000004DE8: E0501000 2304B222
	v_mfma_f32_32x32x8_bf16 v[148:163], a[170:171], v[70:71], v[148:163]// 000000004DF0: D3E00094 0E528DAA
	v_mfma_f32_32x32x8_bf16 v[148:163], a[172:173], v[72:73], v[148:163]// 000000004DF8: D3E00094 0E5291AC
	buffer_load_dword v179, v35, s[16:19], s35 offen           // 000000004E00: E0501000 2304B323
	v_max_f32_e32 v49, v48, v49                                // 000000004E08: 16626330
	v_sub_f32_e32 v44, v52, v49                                // 000000004E0C: 04586334
	v_mov_b32_e32 v52, v49                                     // 000000004E10: 7E680331
	v_mul_f32_e32 v51, s56, v49                                // 000000004E14: 0A666238
	v_mul_f32_e32 v44, s56, v44                                // 000000004E18: 0A585838
	v_exp_f32_e32 v44, v44                                     // 000000004E1C: 7E58412C
	v_add_f32_e64 v60, 0, -v51                                 // 000000004E20: D101003C 40026680
	v_mov_b32_e32 v61, v60                                     // 000000004E28: 7E7A033C
	s_nop 0                                                    // 000000004E2C: BF800000
	v_pk_fma_f32 v[84:85], v[84:85], s[56:57], v[60:61]        // 000000004E30: D3B04054 1CF07154
	v_pk_fma_f32 v[86:87], v[86:87], s[56:57], v[60:61]        // 000000004E38: D3B04056 1CF07156
	v_pk_fma_f32 v[88:89], v[88:89], s[56:57], v[60:61]        // 000000004E40: D3B04058 1CF07158
	v_pk_fma_f32 v[90:91], v[90:91], s[56:57], v[60:61]        // 000000004E48: D3B0405A 1CF0715A
	v_pk_fma_f32 v[92:93], v[92:93], s[56:57], v[60:61]        // 000000004E50: D3B0405C 1CF0715C
	v_pk_fma_f32 v[94:95], v[94:95], s[56:57], v[60:61]        // 000000004E58: D3B0405E 1CF0715E
	v_pk_fma_f32 v[96:97], v[96:97], s[56:57], v[60:61]        // 000000004E60: D3B04060 1CF07160
	v_pk_fma_f32 v[98:99], v[98:99], s[56:57], v[60:61]        // 000000004E68: D3B04062 1CF07162
	v_mfma_f32_32x32x8_bf16 v[148:163], a[174:175], v[74:75], v[148:163]// 000000004E70: D3E00094 0E5295AE
	s_add_i32 s35, s44, s35                                    // 000000004E78: 8123232C
	s_add_i32 s52, s52, s53                                    // 000000004E7C: 81343534
	s_addk_i32 s39, 0x20                                       // 000000004E80: B7270020
	s_cmp_lt_i32 s39, s38                                      // 000000004E84: BF042627
	s_nop 0                                                    // 000000004E88: BF800000
	v_mov_b32_e32 v45, v44                                     // 000000004E8C: 7E5A032C
	v_mul_f32_e32 v100, v44, v100                              // 000000004E90: 0AC8C92C
	v_mul_f32_e32 v101, v44, v101                              // 000000004E94: 0ACACB2C
	v_pk_mul_f32 v[102:103], v[44:45], v[102:103]              // 000000004E98: D3B14066 1802CD2C
	v_pk_mul_f32 v[104:105], v[44:45], v[104:105]              // 000000004EA0: D3B14068 1802D12C
	v_pk_mul_f32 v[106:107], v[44:45], v[106:107]              // 000000004EA8: D3B1406A 1802D52C
	v_pk_mul_f32 v[108:109], v[44:45], v[108:109]              // 000000004EB0: D3B1406C 1802D92C
	v_pk_mul_f32 v[110:111], v[44:45], v[110:111]              // 000000004EB8: D3B1406E 1802DD2C
	v_pk_mul_f32 v[112:113], v[44:45], v[112:113]              // 000000004EC0: D3B14070 1802E12C
	v_pk_mul_f32 v[114:115], v[44:45], v[114:115]              // 000000004EC8: D3B14072 1802E52C
	v_pk_mul_f32 v[116:117], v[44:45], v[116:117]              // 000000004ED0: D3B14074 1802E92C
	v_pk_mul_f32 v[118:119], v[44:45], v[118:119]              // 000000004ED8: D3B14076 1802ED2C
	v_pk_mul_f32 v[120:121], v[44:45], v[120:121]              // 000000004EE0: D3B14078 1802F12C
	v_pk_mul_f32 v[122:123], v[44:45], v[122:123]              // 000000004EE8: D3B1407A 1802F52C
	v_pk_mul_f32 v[124:125], v[44:45], v[124:125]              // 000000004EF0: D3B1407C 1802F92C
	v_pk_mul_f32 v[126:127], v[44:45], v[126:127]              // 000000004EF8: D3B1407E 1802FD2C
	v_pk_mul_f32 v[128:129], v[44:45], v[128:129]              // 000000004F00: D3B14080 1803012C
	v_pk_mul_f32 v[130:131], v[44:45], v[130:131]              // 000000004F08: D3B14082 1803052C
	v_pk_mul_f32 v[132:133], v[44:45], v[132:133]              // 000000004F10: D3B14084 1803092C
	v_pk_mul_f32 v[134:135], v[44:45], v[134:135]              // 000000004F18: D3B14086 18030D2C
	v_pk_mul_f32 v[136:137], v[44:45], v[136:137]              // 000000004F20: D3B14088 1803112C
	v_pk_mul_f32 v[138:139], v[44:45], v[138:139]              // 000000004F28: D3B1408A 1803152C
	v_pk_mul_f32 v[140:141], v[44:45], v[140:141]              // 000000004F30: D3B1408C 1803192C
	v_pk_mul_f32 v[142:143], v[44:45], v[142:143]              // 000000004F38: D3B1408E 18031D2C
	v_pk_mul_f32 v[144:145], v[44:45], v[144:145]              // 000000004F40: D3B14090 1803212C
	v_pk_mul_f32 v[146:147], v[44:45], v[146:147]              // 000000004F48: D3B14092 1803252C
	v_pk_mul_f32 v[148:149], v[44:45], v[148:149]              // 000000004F50: D3B14094 1803292C
	v_pk_mul_f32 v[150:151], v[44:45], v[150:151]              // 000000004F58: D3B14096 18032D2C
	v_pk_mul_f32 v[152:153], v[44:45], v[152:153]              // 000000004F60: D3B14098 1803312C
	v_pk_mul_f32 v[154:155], v[44:45], v[154:155]              // 000000004F68: D3B1409A 1803352C
	v_pk_mul_f32 v[156:157], v[44:45], v[156:157]              // 000000004F70: D3B1409C 1803392C
	v_pk_mul_f32 v[158:159], v[44:45], v[158:159]              // 000000004F78: D3B1409E 18033D2C
	v_pk_mul_f32 v[160:161], v[44:45], v[160:161]              // 000000004F80: D3B140A0 1803412C
	v_pk_mul_f32 v[162:163], v[44:45], v[162:163]              // 000000004F88: D3B140A2 1803452C
	s_cbranch_scc0 label_0D3A                                  // 000000004F90: BF840615
	s_waitcnt vmcnt(8) lgkmcnt(8)                              // 000000004F94: BF8C0878
	s_barrier                                                  // 000000004F98: BF8A0000
	v_mfma_f32_32x32x8_bf16 v[68:83], a[48:49], a[0:1], 0      // 000000004F9C: D3E00044 1A020130
	s_mov_b32 m0, s68                                          // 000000004FA4: BEFC0044
	buffer_load_dword v16, s[12:15], s60 offen lds             // 000000004FA8: E0511000 3C030010
	ds_write_b128 v38, v[180:183] offset:26112                 // 000000004FB0: D9BE6600 0000B426
	v_mfma_f32_32x32x8_bf16 v[68:83], a[50:51], a[2:3], v[68:83]// 000000004FB8: D3E00044 1D120532
	v_mfma_f32_32x32x8_bf16 v[68:83], a[52:53], a[4:5], v[68:83]// 000000004FC0: D3E00044 1D120934
	s_add_u32 m0, 0x440, m0                                    // 000000004FC8: 807C7CFF 00000440
	buffer_load_dword v17, s[12:15], s60 offen lds             // 000000004FD0: E0511000 3C030011
	ds_write_b128 v38, v[184:187] offset:30272                 // 000000004FD8: D9BE7640 0000B826
	v_mfma_f32_32x32x8_bf16 v[68:83], a[54:55], a[6:7], v[68:83]// 000000004FE0: D3E00044 1D120D36
	v_mfma_f32_32x32x8_bf16 v[68:83], a[56:57], a[8:9], v[68:83]// 000000004FE8: D3E00044 1D121138
	s_add_u32 m0, 0x440, m0                                    // 000000004FF0: 807C7CFF 00000440
	buffer_load_dword v18, s[12:15], s60 offen lds             // 000000004FF8: E0511000 3C030012
	ds_read_b128 a[96:99], v36 offset:13056                    // 000000005000: DBFE3300 60000024
	ds_read_b128 a[100:103], v36 offset:13088                  // 000000005008: DBFE3320 64000024
	v_mfma_f32_32x32x8_bf16 v[68:83], a[58:59], a[10:11], v[68:83]// 000000005010: D3E00044 1D12153A
	v_mfma_f32_32x32x8_bf16 v[68:83], a[60:61], a[12:13], v[68:83]// 000000005018: D3E00044 1D12193C
	s_add_u32 m0, 0x440, m0                                    // 000000005020: 807C7CFF 00000440
	buffer_load_dword v19, s[12:15], s60 offen lds             // 000000005028: E0511000 3C030013
	ds_read_b128 a[104:107], v36 offset:13120                  // 000000005030: DBFE3340 68000024
	ds_read_b128 a[108:111], v36 offset:13152                  // 000000005038: DBFE3360 6C000024
	v_mfma_f32_32x32x8_bf16 v[68:83], a[62:63], a[14:15], v[68:83]// 000000005040: D3E00044 1D121D3E
	v_mfma_f32_32x32x8_bf16 v[68:83], a[64:65], a[16:17], v[68:83]// 000000005048: D3E00044 1D122140
	s_add_u32 m0, 0x440, m0                                    // 000000005050: 807C7CFF 00000440
	buffer_load_dword v20, s[12:15], s60 offen lds             // 000000005058: E0511000 3C030014
	ds_read_b128 a[112:115], v36 offset:17408                  // 000000005060: DBFE4400 70000024
	ds_read_b128 a[116:119], v36 offset:17440                  // 000000005068: DBFE4420 74000024
	v_mfma_f32_32x32x8_bf16 v[68:83], a[66:67], a[18:19], v[68:83]// 000000005070: D3E00044 1D122542
	v_mfma_f32_32x32x8_bf16 v[68:83], a[68:69], a[20:21], v[68:83]// 000000005078: D3E00044 1D122944
	s_add_u32 m0, 0x440, m0                                    // 000000005080: 807C7CFF 00000440
	buffer_load_dword v21, s[12:15], s60 offen lds             // 000000005088: E0511000 3C030015
	ds_read_b128 a[120:123], v36 offset:17472                  // 000000005090: DBFE4440 78000024
	ds_read_b128 a[124:127], v36 offset:17504                  // 000000005098: DBFE4460 7C000024
	v_mfma_f32_32x32x8_bf16 v[68:83], a[70:71], a[22:23], v[68:83]// 0000000050A0: D3E00044 1D122D46
	v_mfma_f32_32x32x8_bf16 v[68:83], a[72:73], a[24:25], v[68:83]// 0000000050A8: D3E00044 1D123148
	s_add_u32 m0, 0x440, m0                                    // 0000000050B0: 807C7CFF 00000440
	buffer_load_dword v22, s[12:15], s60 offen lds             // 0000000050B8: E0511000 3C030016
	ds_read_b128 a[128:131], v36 offset:21760                  // 0000000050C0: DBFE5500 80000024
	ds_read_b128 a[132:135], v36 offset:21792                  // 0000000050C8: DBFE5520 84000024
	v_mfma_f32_32x32x8_bf16 v[68:83], a[74:75], a[26:27], v[68:83]// 0000000050D0: D3E00044 1D12354A
	v_mfma_f32_32x32x8_bf16 v[68:83], a[76:77], a[28:29], v[68:83]// 0000000050D8: D3E00044 1D12394C
	s_add_u32 m0, 0x440, m0                                    // 0000000050E0: 807C7CFF 00000440
	buffer_load_dword v23, s[12:15], s60 offen lds             // 0000000050E8: E0511000 3C030017
	ds_read_b128 a[136:139], v36 offset:21824                  // 0000000050F0: DBFE5540 88000024
	ds_read_b128 a[140:143], v36 offset:21856                  // 0000000050F8: DBFE5560 8C000024
	v_mfma_f32_32x32x8_bf16 v[68:83], a[78:79], a[30:31], v[68:83]// 000000005100: D3E00044 1D123D4E
	v_mfma_f32_32x32x8_bf16 v[68:83], a[80:81], a[32:33], v[68:83]// 000000005108: D3E00044 1D124150
	s_add_u32 m0, 0x440, m0                                    // 000000005110: 807C7CFF 00000440
	buffer_load_dword v24, s[12:15], s60 offen lds             // 000000005118: E0511000 3C030018
	v_mfma_f32_32x32x8_bf16 v[68:83], a[82:83], a[34:35], v[68:83]// 000000005120: D3E00044 1D124552
	v_mfma_f32_32x32x8_bf16 v[68:83], a[84:85], a[36:37], v[68:83]// 000000005128: D3E00044 1D124954
	s_add_u32 m0, 0x440, m0                                    // 000000005130: 807C7CFF 00000440
	buffer_load_dword v25, s[12:15], s60 offen lds             // 000000005138: E0511000 3C030019
	v_mfma_f32_32x32x8_bf16 v[68:83], a[86:87], a[38:39], v[68:83]// 000000005140: D3E00044 1D124D56
	v_mfma_f32_32x32x8_bf16 v[68:83], a[88:89], a[40:41], v[68:83]// 000000005148: D3E00044 1D125158
	s_add_u32 m0, 0x440, m0                                    // 000000005150: 807C7CFF 00000440
	buffer_load_dword v26, s[12:15], s60 offen lds             // 000000005158: E0511000 3C03001A
	v_mfma_f32_32x32x8_bf16 v[68:83], a[90:91], a[42:43], v[68:83]// 000000005160: D3E00044 1D12555A
	v_mfma_f32_32x32x8_bf16 v[68:83], a[92:93], a[44:45], v[68:83]// 000000005168: D3E00044 1D12595C
	s_add_u32 m0, 0x440, m0                                    // 000000005170: 807C7CFF 00000440
	buffer_load_dword v27, s[12:15], s60 offen lds             // 000000005178: E0511000 3C03001B
	s_nop 0                                                    // 000000005180: BF800000
	v_exp_f32_e32 v84, v84                                     // 000000005184: 7EA84154
	v_exp_f32_e32 v85, v85                                     // 000000005188: 7EAA4155
	v_exp_f32_e32 v86, v86                                     // 00000000518C: 7EAC4156
	v_exp_f32_e32 v87, v87                                     // 000000005190: 7EAE4157
	v_exp_f32_e32 v88, v88                                     // 000000005194: 7EB04158
	v_exp_f32_e32 v89, v89                                     // 000000005198: 7EB24159
	v_exp_f32_e32 v90, v90                                     // 00000000519C: 7EB4415A
	v_exp_f32_e32 v91, v91                                     // 0000000051A0: 7EB6415B
	v_exp_f32_e32 v92, v92                                     // 0000000051A4: 7EB8415C
	v_exp_f32_e32 v93, v93                                     // 0000000051A8: 7EBA415D
	v_exp_f32_e32 v94, v94                                     // 0000000051AC: 7EBC415E
	v_exp_f32_e32 v95, v95                                     // 0000000051B0: 7EBE415F
	v_exp_f32_e32 v96, v96                                     // 0000000051B4: 7EC04160
	v_exp_f32_e32 v97, v97                                     // 0000000051B8: 7EC24161
	v_exp_f32_e32 v98, v98                                     // 0000000051BC: 7EC44162
	v_exp_f32_e32 v99, v99                                     // 0000000051C0: 7EC64163
	v_mul_f32_e32 v46, v44, v46                                // 0000000051C4: 0A5C5D2C
	v_pk_add_f32 v[62:63], v[84:85], v[86:87]                  // 0000000051C8: D3B2403E 1802AD54
	v_pk_add_f32 v[62:63], v[88:89], v[62:63]                  // 0000000051D0: D3B2403E 18027D58
	v_pk_add_f32 v[62:63], v[90:91], v[62:63]                  // 0000000051D8: D3B2403E 18027D5A
	v_pk_add_f32 v[62:63], v[92:93], v[62:63]                  // 0000000051E0: D3B2403E 18027D5C
	v_pk_add_f32 v[62:63], v[94:95], v[62:63]                  // 0000000051E8: D3B2403E 18027D5E
	v_pk_add_f32 v[62:63], v[96:97], v[62:63]                  // 0000000051F0: D3B2403E 18027D60
	v_pk_add_f32 v[62:63], v[98:99], v[62:63]                  // 0000000051F8: D3B2403E 18027D62
	v_add_f32_e32 v62, v62, v63                                // 000000005200: 027C7F3E
	v_add_f32_e32 v46, v62, v46                                // 000000005204: 025C5D3E
	v_perm_b32 v84, v85, v84, s49                              // 000000005208: D1ED0054 00C6A955
	v_perm_b32 v85, v87, v86, s49                              // 000000005210: D1ED0055 00C6AD57
	v_perm_b32 v86, v89, v88, s49                              // 000000005218: D1ED0056 00C6B159
	v_perm_b32 v87, v91, v90, s49                              // 000000005220: D1ED0057 00C6B55B
	v_perm_b32 v88, v93, v92, s49                              // 000000005228: D1ED0058 00C6B95D
	v_perm_b32 v89, v95, v94, s49                              // 000000005230: D1ED0059 00C6BD5F
	v_perm_b32 v90, v97, v96, s49                              // 000000005238: D1ED005A 00C6C161
	v_perm_b32 v91, v99, v98, s49                              // 000000005240: D1ED005B 00C6C563
	v_mfma_f32_32x32x8_bf16 v[68:83], a[94:95], a[46:47], v[68:83]// 000000005248: D3E00044 1D125D5E
	s_add_i32 s60, s43, s60                                    // 000000005250: 813C3C2B
	s_cmp_lt_i32 s52, s51                                      // 000000005254: BF043334
	s_cbranch_scc1 label_0864                                  // 000000005258: BF85008D
	s_nop 0                                                    // 00000000525C: BF800000
	s_sub_i32 s40, s51, s52                                    // 000000005260: 81A83433
	s_sub_i32 s41, s7, s30                                     // 000000005264: 81A91E07
	s_and_b32 s41, s41, 31                                     // 000000005268: 86299F29
	s_add_i32 s40, s40, s41                                    // 00000000526C: 81282928
	v_add_i32 v40, v53, s40                                    // 000000005270: D29C0028 00005135
	v_cmp_lt_i32_e64 s[72:73], v40, 0                          // 000000005278: D0C10048 00010128
	v_cmp_lt_i32_e64 s[74:75], v40, 1                          // 000000005280: D0C1004A 00010328
	v_cndmask_b32_e64 v68, v68, v55, s[72:73]                  // 000000005288: D1000044 01226F44
	v_cndmask_b32_e64 v69, v69, v55, s[74:75]                  // 000000005290: D1000045 012A6F45
	v_cmp_lt_i32_e64 s[72:73], v40, 2                          // 000000005298: D0C10048 00010528
	v_cmp_lt_i32_e64 s[74:75], v40, 3                          // 0000000052A0: D0C1004A 00010728
	v_cndmask_b32_e64 v70, v70, v55, s[72:73]                  // 0000000052A8: D1000046 01226F46
	v_cndmask_b32_e64 v71, v71, v55, s[74:75]                  // 0000000052B0: D1000047 012A6F47
	v_cmp_lt_i32_e64 s[72:73], v40, 8                          // 0000000052B8: D0C10048 00011128
	v_cmp_lt_i32_e64 s[74:75], v40, 9                          // 0000000052C0: D0C1004A 00011328
	v_cndmask_b32_e64 v72, v72, v55, s[72:73]                  // 0000000052C8: D1000048 01226F48
	v_cndmask_b32_e64 v73, v73, v55, s[74:75]                  // 0000000052D0: D1000049 012A6F49
	v_cmp_lt_i32_e64 s[72:73], v40, 10                         // 0000000052D8: D0C10048 00011528
	v_cmp_lt_i32_e64 s[74:75], v40, 11                         // 0000000052E0: D0C1004A 00011728
	v_cndmask_b32_e64 v74, v74, v55, s[72:73]                  // 0000000052E8: D100004A 01226F4A
	v_cndmask_b32_e64 v75, v75, v55, s[74:75]                  // 0000000052F0: D100004B 012A6F4B
	v_cmp_lt_i32_e64 s[72:73], v40, 16                         // 0000000052F8: D0C10048 00012128
	v_cmp_lt_i32_e64 s[74:75], v40, 17                         // 000000005300: D0C1004A 00012328
	v_cndmask_b32_e64 v76, v76, v55, s[72:73]                  // 000000005308: D100004C 01226F4C
	v_cndmask_b32_e64 v77, v77, v55, s[74:75]                  // 000000005310: D100004D 012A6F4D
	v_cmp_lt_i32_e64 s[72:73], v40, 18                         // 000000005318: D0C10048 00012528
	v_cmp_lt_i32_e64 s[74:75], v40, 19                         // 000000005320: D0C1004A 00012728
	v_cndmask_b32_e64 v78, v78, v55, s[72:73]                  // 000000005328: D100004E 01226F4E
	v_cndmask_b32_e64 v79, v79, v55, s[74:75]                  // 000000005330: D100004F 012A6F4F
	v_cmp_lt_i32_e64 s[72:73], v40, 24                         // 000000005338: D0C10048 00013128
	v_cmp_lt_i32_e64 s[74:75], v40, 25                         // 000000005340: D0C1004A 00013328
	v_cndmask_b32_e64 v80, v80, v55, s[72:73]                  // 000000005348: D1000050 01226F50
	v_cndmask_b32_e64 v81, v81, v55, s[74:75]                  // 000000005350: D1000051 012A6F51
	v_cmp_lt_i32_e64 s[72:73], v40, 26                         // 000000005358: D0C10048 00013528
	v_cmp_lt_i32_e64 s[74:75], v40, 27                         // 000000005360: D0C1004A 00013728
	v_cndmask_b32_e64 v82, v82, v55, s[72:73]                  // 000000005368: D1000052 01226F52
	v_cndmask_b32_e64 v83, v83, v55, s[74:75]                  // 000000005370: D1000053 012A6F53
	s_nop 0                                                    // 000000005378: BF800000
	s_cmp_lt_i32 s52, s54                                      // 00000000537C: BF043634
	s_cbranch_scc1 label_0864                                  // 000000005380: BF850043
	s_sub_i32 s40, s7, s52                                     // 000000005384: 81A83407
	v_sub_i32 v40, s40, v54                                    // 000000005388: D29D0028 00026C28
	v_cmp_lt_i32_e64 s[72:73], 0, v40                          // 000000005390: D0C10048 00025080
	v_cmp_lt_i32_e64 s[74:75], 1, v40                          // 000000005398: D0C1004A 00025081
	v_cndmask_b32_e64 v68, v55, v68, s[72:73]                  // 0000000053A0: D1000044 01228937
	v_cndmask_b32_e64 v69, v55, v69, s[74:75]                  // 0000000053A8: D1000045 012A8B37
	v_cmp_lt_i32_e64 s[72:73], 2, v40                          // 0000000053B0: D0C10048 00025082
	v_cmp_lt_i32_e64 s[74:75], 3, v40                          // 0000000053B8: D0C1004A 00025083
	v_cndmask_b32_e64 v70, v55, v70, s[72:73]                  // 0000000053C0: D1000046 01228D37
	v_cndmask_b32_e64 v71, v55, v71, s[74:75]                  // 0000000053C8: D1000047 012A8F37
	v_cmp_lt_i32_e64 s[72:73], 8, v40                          // 0000000053D0: D0C10048 00025088
	v_cmp_lt_i32_e64 s[74:75], 9, v40                          // 0000000053D8: D0C1004A 00025089
	v_cndmask_b32_e64 v72, v55, v72, s[72:73]                  // 0000000053E0: D1000048 01229137
	v_cndmask_b32_e64 v73, v55, v73, s[74:75]                  // 0000000053E8: D1000049 012A9337
	v_cmp_lt_i32_e64 s[72:73], 10, v40                         // 0000000053F0: D0C10048 0002508A
	v_cmp_lt_i32_e64 s[74:75], 11, v40                         // 0000000053F8: D0C1004A 0002508B
	v_cndmask_b32_e64 v74, v55, v74, s[72:73]                  // 000000005400: D100004A 01229537
	v_cndmask_b32_e64 v75, v55, v75, s[74:75]                  // 000000005408: D100004B 012A9737
	v_cmp_lt_i32_e64 s[72:73], 16, v40                         // 000000005410: D0C10048 00025090
	v_cmp_lt_i32_e64 s[74:75], 17, v40                         // 000000005418: D0C1004A 00025091
	v_cndmask_b32_e64 v76, v55, v76, s[72:73]                  // 000000005420: D100004C 01229937
	v_cndmask_b32_e64 v77, v55, v77, s[74:75]                  // 000000005428: D100004D 012A9B37
	v_cmp_lt_i32_e64 s[72:73], 18, v40                         // 000000005430: D0C10048 00025092
	v_cmp_lt_i32_e64 s[74:75], 19, v40                         // 000000005438: D0C1004A 00025093
	v_cndmask_b32_e64 v78, v55, v78, s[72:73]                  // 000000005440: D100004E 01229D37
	v_cndmask_b32_e64 v79, v55, v79, s[74:75]                  // 000000005448: D100004F 012A9F37
	v_cmp_lt_i32_e64 s[72:73], 24, v40                         // 000000005450: D0C10048 00025098
	v_cmp_lt_i32_e64 s[74:75], 25, v40                         // 000000005458: D0C1004A 00025099
	v_cndmask_b32_e64 v80, v55, v80, s[72:73]                  // 000000005460: D1000050 0122A137
	v_cndmask_b32_e64 v81, v55, v81, s[74:75]                  // 000000005468: D1000051 012AA337
	v_cmp_lt_i32_e64 s[72:73], 26, v40                         // 000000005470: D0C10048 0002509A
	v_cmp_lt_i32_e64 s[74:75], 27, v40                         // 000000005478: D0C1004A 0002509B
	v_cndmask_b32_e64 v82, v55, v82, s[72:73]                  // 000000005480: D1000052 0122A537
	v_cndmask_b32_e64 v83, v55, v83, s[74:75]                  // 000000005488: D1000053 012AA737

0000000000005490 <label_0864>:
	s_waitcnt vmcnt(12) lgkmcnt(12)                            // 000000005490: BF8C0C7C
	s_barrier                                                  // 000000005494: BF8A0000
	v_max3_f32 v49, v68, v69, v52                              // 000000005498: D1D30031 04D28B44
	v_max3_f32 v49, v70, v71, v49                              // 0000000054A0: D1D30031 04C68F46
	v_max3_f32 v49, v72, v73, v49                              // 0000000054A8: D1D30031 04C69348
	v_max3_f32 v49, v74, v75, v49                              // 0000000054B0: D1D30031 04C6974A
	v_max3_f32 v49, v76, v77, v49                              // 0000000054B8: D1D30031 04C69B4C
	v_max3_f32 v49, v78, v79, v49                              // 0000000054C0: D1D30031 04C69F4E
	v_max3_f32 v49, v80, v81, v49                              // 0000000054C8: D1D30031 04C6A350
	v_max3_f32 v49, v82, v83, v49                              // 0000000054D0: D1D30031 04C6A752
	v_mfma_f32_32x32x8_bf16 v[100:115], a[176:177], v[84:85], v[100:115]// 0000000054D8: D3E00064 0D92A9B0
	buffer_load_dword v164, v28, s[16:19], s35 offen           // 0000000054E0: E0501000 2304A41C
	ds_permute_b32 v48, v56, v49                               // 0000000054E8: D87C0000 30003138
	v_mfma_f32_32x32x8_bf16 v[100:115], a[178:179], v[86:87], v[100:115]// 0000000054F0: D3E00064 0D92ADB2
	v_mfma_f32_32x32x8_bf16 v[100:115], a[180:181], v[88:89], v[100:115]// 0000000054F8: D3E00064 0D92B1B4
	buffer_load_dword v165, v29, s[16:19], s35 offen           // 000000005500: E0501000 2304A51D
	v_perm_b32 v188, v173, v172, s50                           // 000000005508: D1ED00BC 00CB59AD
	v_perm_b32 v192, v173, v172, s49                           // 000000005510: D1ED00C0 00C759AD
	v_perm_b32 v189, v175, v174, s50                           // 000000005518: D1ED00BD 00CB5DAF
	v_perm_b32 v193, v175, v174, s49                           // 000000005520: D1ED00C1 00C75DAF
	v_perm_b32 v190, v177, v176, s50                           // 000000005528: D1ED00BE 00CB61B1
	v_perm_b32 v194, v177, v176, s49                           // 000000005530: D1ED00C2 00C761B1
	v_perm_b32 v191, v179, v178, s50                           // 000000005538: D1ED00BF 00CB65B3
	v_perm_b32 v195, v179, v178, s49                           // 000000005540: D1ED00C3 00C765B3
	v_mfma_f32_32x32x8_bf16 v[100:115], a[182:183], v[90:91], v[100:115]// 000000005548: D3E00064 0D92B5B6
	v_mfma_f32_32x32x8_bf16 v[116:131], a[184:185], v[84:85], v[116:131]// 000000005550: D3E00074 0DD2A9B8
	buffer_load_dword v166, v30, s[16:19], s35 offen           // 000000005558: E0501000 2304A61E
	v_mfma_f32_32x32x8_bf16 v[116:131], a[186:187], v[86:87], v[116:131]// 000000005560: D3E00074 0DD2ADBA
	s_waitcnt lgkmcnt(0)                                       // 000000005568: BF8CC07F
	s_nop 0                                                    // 00000000556C: BF800000
	v_mfma_f32_32x32x8_bf16 v[116:131], a[188:189], v[88:89], v[116:131]// 000000005570: D3E00074 0DD2B1BC
	buffer_load_dword v167, v31, s[16:19], s35 offen           // 000000005578: E0501000 2304A71F
	ds_read_b128 a[144:147], v37 offset:26112                  // 000000005580: DBFE6600 90000025
	ds_read_b128 a[148:151], v37 offset:28160                  // 000000005588: DBFE6E00 94000025
	ds_read_b128 a[152:155], v37 offset:26368                  // 000000005590: DBFE6700 98000025
	ds_read_b128 a[156:159], v37 offset:28416                  // 000000005598: DBFE6F00 9C000025
	v_mfma_f32_32x32x8_bf16 v[116:131], a[190:191], v[90:91], v[116:131]// 0000000055A0: D3E00074 0DD2B5BE
	v_mfma_f32_32x32x8_bf16 v[132:147], a[192:193], v[84:85], v[132:147]// 0000000055A8: D3E00084 0E12A9C0
	buffer_load_dword v168, v32, s[16:19], s35 offen           // 0000000055B0: E0501000 2304A820
	v_mfma_f32_32x32x8_bf16 v[132:147], a[194:195], v[86:87], v[132:147]// 0000000055B8: D3E00084 0E12ADC2
	v_mfma_f32_32x32x8_bf16 v[132:147], a[196:197], v[88:89], v[132:147]// 0000000055C0: D3E00084 0E12B1C4
	buffer_load_dword v169, v33, s[16:19], s35 offen           // 0000000055C8: E0501000 2304A921
	ds_read_b128 a[160:163], v37 offset:26624                  // 0000000055D0: DBFE6800 A0000025
	ds_read_b128 a[164:167], v37 offset:28672                  // 0000000055D8: DBFE7000 A4000025
	ds_read_b128 a[168:171], v37 offset:26880                  // 0000000055E0: DBFE6900 A8000025
	ds_read_b128 a[172:175], v37 offset:28928                  // 0000000055E8: DBFE7100 AC000025
	v_mfma_f32_32x32x8_bf16 v[132:147], a[198:199], v[90:91], v[132:147]// 0000000055F0: D3E00084 0E12B5C6
	v_mfma_f32_32x32x8_bf16 v[148:163], a[200:201], v[84:85], v[148:163]// 0000000055F8: D3E00094 0E52A9C8
	buffer_load_dword v170, v34, s[16:19], s35 offen           // 000000005600: E0501000 2304AA22
	v_mfma_f32_32x32x8_bf16 v[148:163], a[202:203], v[86:87], v[148:163]// 000000005608: D3E00094 0E52ADCA
	v_mfma_f32_32x32x8_bf16 v[148:163], a[204:205], v[88:89], v[148:163]// 000000005610: D3E00094 0E52B1CC
	buffer_load_dword v171, v35, s[16:19], s35 offen           // 000000005618: E0501000 2304AB23
	v_max_f32_e32 v49, v48, v49                                // 000000005620: 16626330
	v_sub_f32_e32 v44, v52, v49                                // 000000005624: 04586334
	v_mov_b32_e32 v52, v49                                     // 000000005628: 7E680331
	v_mul_f32_e32 v51, s56, v49                                // 00000000562C: 0A666238
	v_mul_f32_e32 v44, s56, v44                                // 000000005630: 0A585838
	v_exp_f32_e32 v44, v44                                     // 000000005634: 7E58412C
	v_add_f32_e64 v60, 0, -v51                                 // 000000005638: D101003C 40026680
	v_mov_b32_e32 v61, v60                                     // 000000005640: 7E7A033C
	s_nop 0                                                    // 000000005644: BF800000
	v_pk_fma_f32 v[68:69], v[68:69], s[56:57], v[60:61]        // 000000005648: D3B04044 1CF07144
	v_pk_fma_f32 v[70:71], v[70:71], s[56:57], v[60:61]        // 000000005650: D3B04046 1CF07146
	v_pk_fma_f32 v[72:73], v[72:73], s[56:57], v[60:61]        // 000000005658: D3B04048 1CF07148
	v_pk_fma_f32 v[74:75], v[74:75], s[56:57], v[60:61]        // 000000005660: D3B0404A 1CF0714A
	v_pk_fma_f32 v[76:77], v[76:77], s[56:57], v[60:61]        // 000000005668: D3B0404C 1CF0714C
	v_pk_fma_f32 v[78:79], v[78:79], s[56:57], v[60:61]        // 000000005670: D3B0404E 1CF0714E
	v_pk_fma_f32 v[80:81], v[80:81], s[56:57], v[60:61]        // 000000005678: D3B04050 1CF07150
	v_pk_fma_f32 v[82:83], v[82:83], s[56:57], v[60:61]        // 000000005680: D3B04052 1CF07152
	v_mfma_f32_32x32x8_bf16 v[148:163], a[206:207], v[90:91], v[148:163]// 000000005688: D3E00094 0E52B5CE
	s_add_i32 s35, s44, s35                                    // 000000005690: 8123232C
	s_add_i32 s52, s52, s53                                    // 000000005694: 81343534
	s_addk_i32 s39, 0x20                                       // 000000005698: B7270020
	s_cmp_lt_i32 s39, s38                                      // 00000000569C: BF042627
	s_nop 0                                                    // 0000000056A0: BF800000
	v_mov_b32_e32 v45, v44                                     // 0000000056A4: 7E5A032C
	v_mul_f32_e32 v100, v44, v100                              // 0000000056A8: 0AC8C92C
	v_mul_f32_e32 v101, v44, v101                              // 0000000056AC: 0ACACB2C
	v_pk_mul_f32 v[102:103], v[44:45], v[102:103]              // 0000000056B0: D3B14066 1802CD2C
	v_pk_mul_f32 v[104:105], v[44:45], v[104:105]              // 0000000056B8: D3B14068 1802D12C
	v_pk_mul_f32 v[106:107], v[44:45], v[106:107]              // 0000000056C0: D3B1406A 1802D52C
	v_pk_mul_f32 v[108:109], v[44:45], v[108:109]              // 0000000056C8: D3B1406C 1802D92C
	v_pk_mul_f32 v[110:111], v[44:45], v[110:111]              // 0000000056D0: D3B1406E 1802DD2C
	v_pk_mul_f32 v[112:113], v[44:45], v[112:113]              // 0000000056D8: D3B14070 1802E12C
	v_pk_mul_f32 v[114:115], v[44:45], v[114:115]              // 0000000056E0: D3B14072 1802E52C
	v_pk_mul_f32 v[116:117], v[44:45], v[116:117]              // 0000000056E8: D3B14074 1802E92C
	v_pk_mul_f32 v[118:119], v[44:45], v[118:119]              // 0000000056F0: D3B14076 1802ED2C
	v_pk_mul_f32 v[120:121], v[44:45], v[120:121]              // 0000000056F8: D3B14078 1802F12C
	v_pk_mul_f32 v[122:123], v[44:45], v[122:123]              // 000000005700: D3B1407A 1802F52C
	v_pk_mul_f32 v[124:125], v[44:45], v[124:125]              // 000000005708: D3B1407C 1802F92C
	v_pk_mul_f32 v[126:127], v[44:45], v[126:127]              // 000000005710: D3B1407E 1802FD2C
	v_pk_mul_f32 v[128:129], v[44:45], v[128:129]              // 000000005718: D3B14080 1803012C
	v_pk_mul_f32 v[130:131], v[44:45], v[130:131]              // 000000005720: D3B14082 1803052C
	v_pk_mul_f32 v[132:133], v[44:45], v[132:133]              // 000000005728: D3B14084 1803092C
	v_pk_mul_f32 v[134:135], v[44:45], v[134:135]              // 000000005730: D3B14086 18030D2C
	v_pk_mul_f32 v[136:137], v[44:45], v[136:137]              // 000000005738: D3B14088 1803112C
	v_pk_mul_f32 v[138:139], v[44:45], v[138:139]              // 000000005740: D3B1408A 1803152C
	v_pk_mul_f32 v[140:141], v[44:45], v[140:141]              // 000000005748: D3B1408C 1803192C
	v_pk_mul_f32 v[142:143], v[44:45], v[142:143]              // 000000005750: D3B1408E 18031D2C
	v_pk_mul_f32 v[144:145], v[44:45], v[144:145]              // 000000005758: D3B14090 1803212C
	v_pk_mul_f32 v[146:147], v[44:45], v[146:147]              // 000000005760: D3B14092 1803252C
	v_pk_mul_f32 v[148:149], v[44:45], v[148:149]              // 000000005768: D3B14094 1803292C
	v_pk_mul_f32 v[150:151], v[44:45], v[150:151]              // 000000005770: D3B14096 18032D2C
	v_pk_mul_f32 v[152:153], v[44:45], v[152:153]              // 000000005778: D3B14098 1803312C
	v_pk_mul_f32 v[154:155], v[44:45], v[154:155]              // 000000005780: D3B1409A 1803352C
	v_pk_mul_f32 v[156:157], v[44:45], v[156:157]              // 000000005788: D3B1409C 1803392C
	v_pk_mul_f32 v[158:159], v[44:45], v[158:159]              // 000000005790: D3B1409E 18033D2C
	v_pk_mul_f32 v[160:161], v[44:45], v[160:161]              // 000000005798: D3B140A0 1803412C
	v_pk_mul_f32 v[162:163], v[44:45], v[162:163]              // 0000000057A0: D3B140A2 1803452C
	s_cbranch_scc0 label_0D3A                                  // 0000000057A8: BF84040F
	s_branch label_051F                                        // 0000000057AC: BF82FBF3

00000000000057b0 <label_092C>:
	s_nop 0                                                    // 0000000057B0: BF800000

00000000000057b4 <label_092D>:
	s_waitcnt vmcnt(8) lgkmcnt(8)                              // 0000000057B4: BF8C0878
	s_barrier                                                  // 0000000057B8: BF8A0000
	v_mfma_f32_32x32x8_bf16 v[84:99], a[96:97], a[0:1], 0      // 0000000057BC: D3E00054 1A020160
	v_mfma_f32_32x32x8_bf16 v[84:99], a[98:99], a[2:3], v[84:99]// 0000000057C4: D3E00054 1D520562
	s_mov_b32 m0, s69                                          // 0000000057CC: BEFC0045
	buffer_load_dword v16, s[12:15], s60 offen lds             // 0000000057D0: E0511000 3C030010
	ds_write_b128 v38, v[188:191] offset:34432                 // 0000000057D8: D9BE8680 0000BC26
	v_mfma_f32_32x32x8_bf16 v[84:99], a[100:101], a[4:5], v[84:99]// 0000000057E0: D3E00054 1D520964
	v_mfma_f32_32x32x8_bf16 v[84:99], a[102:103], a[6:7], v[84:99]// 0000000057E8: D3E00054 1D520D66
	s_add_u32 m0, 0x440, m0                                    // 0000000057F0: 807C7CFF 00000440
	buffer_load_dword v17, s[12:15], s60 offen lds             // 0000000057F8: E0511000 3C030011
	ds_write_b128 v38, v[192:195] offset:38592                 // 000000005800: D9BE96C0 0000C026
	v_mfma_f32_32x32x8_bf16 v[84:99], a[104:105], a[8:9], v[84:99]// 000000005808: D3E00054 1D521168
	v_mfma_f32_32x32x8_bf16 v[84:99], a[106:107], a[10:11], v[84:99]// 000000005810: D3E00054 1D52156A
	s_add_u32 m0, 0x440, m0                                    // 000000005818: 807C7CFF 00000440
	buffer_load_dword v18, s[12:15], s60 offen lds             // 000000005820: E0511000 3C030012
	ds_read_b128 a[48:51], v36                                 // 000000005828: DBFE0000 30000024
	ds_read_b128 a[52:55], v36 offset:32                       // 000000005830: DBFE0020 34000024
	v_mfma_f32_32x32x8_bf16 v[84:99], a[108:109], a[12:13], v[84:99]// 000000005838: D3E00054 1D52196C
	v_mfma_f32_32x32x8_bf16 v[84:99], a[110:111], a[14:15], v[84:99]// 000000005840: D3E00054 1D521D6E
	s_add_u32 m0, 0x440, m0                                    // 000000005848: 807C7CFF 00000440
	buffer_load_dword v19, s[12:15], s60 offen lds             // 000000005850: E0511000 3C030013
	ds_read_b128 a[56:59], v36 offset:64                       // 000000005858: DBFE0040 38000024
	ds_read_b128 a[60:63], v36 offset:96                       // 000000005860: DBFE0060 3C000024
	v_mfma_f32_32x32x8_bf16 v[84:99], a[112:113], a[16:17], v[84:99]// 000000005868: D3E00054 1D522170
	v_mfma_f32_32x32x8_bf16 v[84:99], a[114:115], a[18:19], v[84:99]// 000000005870: D3E00054 1D522572
	s_add_u32 m0, 0x440, m0                                    // 000000005878: 807C7CFF 00000440
	buffer_load_dword v20, s[12:15], s60 offen lds             // 000000005880: E0511000 3C030014
	ds_read_b128 a[64:67], v36 offset:4352                     // 000000005888: DBFE1100 40000024
	ds_read_b128 a[68:71], v36 offset:4384                     // 000000005890: DBFE1120 44000024
	v_mfma_f32_32x32x8_bf16 v[84:99], a[116:117], a[20:21], v[84:99]// 000000005898: D3E00054 1D522974
	v_mfma_f32_32x32x8_bf16 v[84:99], a[118:119], a[22:23], v[84:99]// 0000000058A0: D3E00054 1D522D76
	s_add_u32 m0, 0x440, m0                                    // 0000000058A8: 807C7CFF 00000440
	buffer_load_dword v21, s[12:15], s60 offen lds             // 0000000058B0: E0511000 3C030015
	ds_read_b128 a[72:75], v36 offset:4416                     // 0000000058B8: DBFE1140 48000024
	ds_read_b128 a[76:79], v36 offset:4448                     // 0000000058C0: DBFE1160 4C000024
	v_mfma_f32_32x32x8_bf16 v[84:99], a[120:121], a[24:25], v[84:99]// 0000000058C8: D3E00054 1D523178
	v_mfma_f32_32x32x8_bf16 v[84:99], a[122:123], a[26:27], v[84:99]// 0000000058D0: D3E00054 1D52357A
	s_add_u32 m0, 0x440, m0                                    // 0000000058D8: 807C7CFF 00000440
	buffer_load_dword v22, s[12:15], s60 offen lds             // 0000000058E0: E0511000 3C030016
	ds_read_b128 a[80:83], v36 offset:8704                     // 0000000058E8: DBFE2200 50000024
	ds_read_b128 a[84:87], v36 offset:8736                     // 0000000058F0: DBFE2220 54000024
	v_mfma_f32_32x32x8_bf16 v[84:99], a[124:125], a[28:29], v[84:99]// 0000000058F8: D3E00054 1D52397C
	v_mfma_f32_32x32x8_bf16 v[84:99], a[126:127], a[30:31], v[84:99]// 000000005900: D3E00054 1D523D7E
	s_add_u32 m0, 0x440, m0                                    // 000000005908: 807C7CFF 00000440
	buffer_load_dword v23, s[12:15], s60 offen lds             // 000000005910: E0511000 3C030017
	ds_read_b128 a[88:91], v36 offset:8768                     // 000000005918: DBFE2240 58000024
	ds_read_b128 a[92:95], v36 offset:8800                     // 000000005920: DBFE2260 5C000024
	v_mfma_f32_32x32x8_bf16 v[84:99], a[128:129], a[32:33], v[84:99]// 000000005928: D3E00054 1D524180
	v_mfma_f32_32x32x8_bf16 v[84:99], a[130:131], a[34:35], v[84:99]// 000000005930: D3E00054 1D524582
	s_add_u32 m0, 0x440, m0                                    // 000000005938: 807C7CFF 00000440
	buffer_load_dword v24, s[12:15], s60 offen lds             // 000000005940: E0511000 3C030018
	v_mfma_f32_32x32x8_bf16 v[84:99], a[132:133], a[36:37], v[84:99]// 000000005948: D3E00054 1D524984
	v_mfma_f32_32x32x8_bf16 v[84:99], a[134:135], a[38:39], v[84:99]// 000000005950: D3E00054 1D524D86
	s_add_u32 m0, 0x440, m0                                    // 000000005958: 807C7CFF 00000440
	buffer_load_dword v25, s[12:15], s60 offen lds             // 000000005960: E0511000 3C030019
	v_mfma_f32_32x32x8_bf16 v[84:99], a[136:137], a[40:41], v[84:99]// 000000005968: D3E00054 1D525188
	v_mfma_f32_32x32x8_bf16 v[84:99], a[138:139], a[42:43], v[84:99]// 000000005970: D3E00054 1D52558A
	s_add_u32 m0, 0x440, m0                                    // 000000005978: 807C7CFF 00000440
	buffer_load_dword v26, s[12:15], s60 offen lds             // 000000005980: E0511000 3C03001A
	v_mfma_f32_32x32x8_bf16 v[84:99], a[140:141], a[44:45], v[84:99]// 000000005988: D3E00054 1D52598C
	s_nop 0                                                    // 000000005990: BF800000
	v_exp_f32_e32 v68, v68                                     // 000000005994: 7E884144
	v_exp_f32_e32 v69, v69                                     // 000000005998: 7E8A4145
	v_exp_f32_e32 v70, v70                                     // 00000000599C: 7E8C4146
	v_exp_f32_e32 v71, v71                                     // 0000000059A0: 7E8E4147
	v_exp_f32_e32 v72, v72                                     // 0000000059A4: 7E904148
	v_exp_f32_e32 v73, v73                                     // 0000000059A8: 7E924149
	v_exp_f32_e32 v74, v74                                     // 0000000059AC: 7E94414A
	v_exp_f32_e32 v75, v75                                     // 0000000059B0: 7E96414B
	v_exp_f32_e32 v76, v76                                     // 0000000059B4: 7E98414C
	v_exp_f32_e32 v77, v77                                     // 0000000059B8: 7E9A414D
	v_exp_f32_e32 v78, v78                                     // 0000000059BC: 7E9C414E
	v_exp_f32_e32 v79, v79                                     // 0000000059C0: 7E9E414F
	v_exp_f32_e32 v80, v80                                     // 0000000059C4: 7EA04150
	v_exp_f32_e32 v81, v81                                     // 0000000059C8: 7EA24151
	v_exp_f32_e32 v82, v82                                     // 0000000059CC: 7EA44152
	v_exp_f32_e32 v83, v83                                     // 0000000059D0: 7EA64153
	v_mul_f32_e32 v46, v44, v46                                // 0000000059D4: 0A5C5D2C
	v_pk_add_f32 v[62:63], v[68:69], v[70:71]                  // 0000000059D8: D3B2403E 18028D44
	v_pk_add_f32 v[62:63], v[72:73], v[62:63]                  // 0000000059E0: D3B2403E 18027D48
	v_pk_add_f32 v[62:63], v[74:75], v[62:63]                  // 0000000059E8: D3B2403E 18027D4A
	v_pk_add_f32 v[62:63], v[76:77], v[62:63]                  // 0000000059F0: D3B2403E 18027D4C
	v_pk_add_f32 v[62:63], v[78:79], v[62:63]                  // 0000000059F8: D3B2403E 18027D4E
	v_pk_add_f32 v[62:63], v[80:81], v[62:63]                  // 000000005A00: D3B2403E 18027D50
	v_pk_add_f32 v[62:63], v[82:83], v[62:63]                  // 000000005A08: D3B2403E 18027D52
	v_add_f32_e32 v62, v62, v63                                // 000000005A10: 027C7F3E
	v_add_f32_e32 v46, v62, v46                                // 000000005A14: 025C5D3E
	v_perm_b32 v68, v69, v68, s49                              // 000000005A18: D1ED0044 00C68945
	v_perm_b32 v69, v71, v70, s49                              // 000000005A20: D1ED0045 00C68D47
	v_perm_b32 v70, v73, v72, s49                              // 000000005A28: D1ED0046 00C69149
	v_perm_b32 v71, v75, v74, s49                              // 000000005A30: D1ED0047 00C6954B
	v_perm_b32 v72, v77, v76, s49                              // 000000005A38: D1ED0048 00C6994D
	v_perm_b32 v73, v79, v78, s49                              // 000000005A40: D1ED0049 00C69D4F
	v_perm_b32 v74, v81, v80, s49                              // 000000005A48: D1ED004A 00C6A151
	v_perm_b32 v75, v83, v82, s49                              // 000000005A50: D1ED004B 00C6A553
	v_mfma_f32_32x32x8_bf16 v[84:99], a[142:143], a[46:47], v[84:99]// 000000005A58: D3E00054 1D525D8E
	s_add_u32 m0, 0x440, m0                                    // 000000005A60: 807C7CFF 00000440
	buffer_load_dword v27, s[12:15], s60 offen lds             // 000000005A68: E0511000 3C03001B
	s_add_i32 s60, s43, s60                                    // 000000005A70: 813C3C2B
	s_cmp_lt_i32 s52, s51                                      // 000000005A74: BF043334
	s_cbranch_scc1 label_0A6C                                  // 000000005A78: BF85008D
	s_nop 0                                                    // 000000005A7C: BF800000
	s_sub_i32 s40, s51, s52                                    // 000000005A80: 81A83433
	s_sub_i32 s41, s7, s30                                     // 000000005A84: 81A91E07
	s_and_b32 s41, s41, 31                                     // 000000005A88: 86299F29
	s_add_i32 s40, s40, s41                                    // 000000005A8C: 81282928
	v_add_i32 v40, v53, s40                                    // 000000005A90: D29C0028 00005135
	v_cmp_lt_i32_e64 s[72:73], v40, 0                          // 000000005A98: D0C10048 00010128
	v_cmp_lt_i32_e64 s[74:75], v40, 1                          // 000000005AA0: D0C1004A 00010328
	v_cndmask_b32_e64 v84, v84, v55, s[72:73]                  // 000000005AA8: D1000054 01226F54
	v_cndmask_b32_e64 v85, v85, v55, s[74:75]                  // 000000005AB0: D1000055 012A6F55
	v_cmp_lt_i32_e64 s[72:73], v40, 2                          // 000000005AB8: D0C10048 00010528
	v_cmp_lt_i32_e64 s[74:75], v40, 3                          // 000000005AC0: D0C1004A 00010728
	v_cndmask_b32_e64 v86, v86, v55, s[72:73]                  // 000000005AC8: D1000056 01226F56
	v_cndmask_b32_e64 v87, v87, v55, s[74:75]                  // 000000005AD0: D1000057 012A6F57
	v_cmp_lt_i32_e64 s[72:73], v40, 8                          // 000000005AD8: D0C10048 00011128
	v_cmp_lt_i32_e64 s[74:75], v40, 9                          // 000000005AE0: D0C1004A 00011328
	v_cndmask_b32_e64 v88, v88, v55, s[72:73]                  // 000000005AE8: D1000058 01226F58
	v_cndmask_b32_e64 v89, v89, v55, s[74:75]                  // 000000005AF0: D1000059 012A6F59
	v_cmp_lt_i32_e64 s[72:73], v40, 10                         // 000000005AF8: D0C10048 00011528
	v_cmp_lt_i32_e64 s[74:75], v40, 11                         // 000000005B00: D0C1004A 00011728
	v_cndmask_b32_e64 v90, v90, v55, s[72:73]                  // 000000005B08: D100005A 01226F5A
	v_cndmask_b32_e64 v91, v91, v55, s[74:75]                  // 000000005B10: D100005B 012A6F5B
	v_cmp_lt_i32_e64 s[72:73], v40, 16                         // 000000005B18: D0C10048 00012128
	v_cmp_lt_i32_e64 s[74:75], v40, 17                         // 000000005B20: D0C1004A 00012328
	v_cndmask_b32_e64 v92, v92, v55, s[72:73]                  // 000000005B28: D100005C 01226F5C
	v_cndmask_b32_e64 v93, v93, v55, s[74:75]                  // 000000005B30: D100005D 012A6F5D
	v_cmp_lt_i32_e64 s[72:73], v40, 18                         // 000000005B38: D0C10048 00012528
	v_cmp_lt_i32_e64 s[74:75], v40, 19                         // 000000005B40: D0C1004A 00012728
	v_cndmask_b32_e64 v94, v94, v55, s[72:73]                  // 000000005B48: D100005E 01226F5E
	v_cndmask_b32_e64 v95, v95, v55, s[74:75]                  // 000000005B50: D100005F 012A6F5F
	v_cmp_lt_i32_e64 s[72:73], v40, 24                         // 000000005B58: D0C10048 00013128
	v_cmp_lt_i32_e64 s[74:75], v40, 25                         // 000000005B60: D0C1004A 00013328
	v_cndmask_b32_e64 v96, v96, v55, s[72:73]                  // 000000005B68: D1000060 01226F60
	v_cndmask_b32_e64 v97, v97, v55, s[74:75]                  // 000000005B70: D1000061 012A6F61
	v_cmp_lt_i32_e64 s[72:73], v40, 26                         // 000000005B78: D0C10048 00013528
	v_cmp_lt_i32_e64 s[74:75], v40, 27                         // 000000005B80: D0C1004A 00013728
	v_cndmask_b32_e64 v98, v98, v55, s[72:73]                  // 000000005B88: D1000062 01226F62
	v_cndmask_b32_e64 v99, v99, v55, s[74:75]                  // 000000005B90: D1000063 012A6F63
	s_nop 0                                                    // 000000005B98: BF800000
	s_cmp_lt_i32 s52, s54                                      // 000000005B9C: BF043634
	s_cbranch_scc1 label_0A6C                                  // 000000005BA0: BF850043
	s_sub_i32 s40, s7, s52                                     // 000000005BA4: 81A83407
	v_sub_i32 v40, s40, v54                                    // 000000005BA8: D29D0028 00026C28
	v_cmp_lt_i32_e64 s[72:73], 0, v40                          // 000000005BB0: D0C10048 00025080
	v_cmp_lt_i32_e64 s[74:75], 1, v40                          // 000000005BB8: D0C1004A 00025081
	v_cndmask_b32_e64 v84, v55, v84, s[72:73]                  // 000000005BC0: D1000054 0122A937
	v_cndmask_b32_e64 v85, v55, v85, s[74:75]                  // 000000005BC8: D1000055 012AAB37
	v_cmp_lt_i32_e64 s[72:73], 2, v40                          // 000000005BD0: D0C10048 00025082
	v_cmp_lt_i32_e64 s[74:75], 3, v40                          // 000000005BD8: D0C1004A 00025083
	v_cndmask_b32_e64 v86, v55, v86, s[72:73]                  // 000000005BE0: D1000056 0122AD37
	v_cndmask_b32_e64 v87, v55, v87, s[74:75]                  // 000000005BE8: D1000057 012AAF37
	v_cmp_lt_i32_e64 s[72:73], 8, v40                          // 000000005BF0: D0C10048 00025088
	v_cmp_lt_i32_e64 s[74:75], 9, v40                          // 000000005BF8: D0C1004A 00025089
	v_cndmask_b32_e64 v88, v55, v88, s[72:73]                  // 000000005C00: D1000058 0122B137
	v_cndmask_b32_e64 v89, v55, v89, s[74:75]                  // 000000005C08: D1000059 012AB337
	v_cmp_lt_i32_e64 s[72:73], 10, v40                         // 000000005C10: D0C10048 0002508A
	v_cmp_lt_i32_e64 s[74:75], 11, v40                         // 000000005C18: D0C1004A 0002508B
	v_cndmask_b32_e64 v90, v55, v90, s[72:73]                  // 000000005C20: D100005A 0122B537
	v_cndmask_b32_e64 v91, v55, v91, s[74:75]                  // 000000005C28: D100005B 012AB737
	v_cmp_lt_i32_e64 s[72:73], 16, v40                         // 000000005C30: D0C10048 00025090
	v_cmp_lt_i32_e64 s[74:75], 17, v40                         // 000000005C38: D0C1004A 00025091
	v_cndmask_b32_e64 v92, v55, v92, s[72:73]                  // 000000005C40: D100005C 0122B937
	v_cndmask_b32_e64 v93, v55, v93, s[74:75]                  // 000000005C48: D100005D 012ABB37
	v_cmp_lt_i32_e64 s[72:73], 18, v40                         // 000000005C50: D0C10048 00025092
	v_cmp_lt_i32_e64 s[74:75], 19, v40                         // 000000005C58: D0C1004A 00025093
	v_cndmask_b32_e64 v94, v55, v94, s[72:73]                  // 000000005C60: D100005E 0122BD37
	v_cndmask_b32_e64 v95, v55, v95, s[74:75]                  // 000000005C68: D100005F 012ABF37
	v_cmp_lt_i32_e64 s[72:73], 24, v40                         // 000000005C70: D0C10048 00025098
	v_cmp_lt_i32_e64 s[74:75], 25, v40                         // 000000005C78: D0C1004A 00025099
	v_cndmask_b32_e64 v96, v55, v96, s[72:73]                  // 000000005C80: D1000060 0122C137
	v_cndmask_b32_e64 v97, v55, v97, s[74:75]                  // 000000005C88: D1000061 012AC337
	v_cmp_lt_i32_e64 s[72:73], 26, v40                         // 000000005C90: D0C10048 0002509A
	v_cmp_lt_i32_e64 s[74:75], 27, v40                         // 000000005C98: D0C1004A 0002509B
	v_cndmask_b32_e64 v98, v55, v98, s[72:73]                  // 000000005CA0: D1000062 0122C537
	v_cndmask_b32_e64 v99, v55, v99, s[74:75]                  // 000000005CA8: D1000063 012AC737

0000000000005cb0 <label_0A6C>:
	s_waitcnt vmcnt(12) lgkmcnt(12)                            // 000000005CB0: BF8C0C7C
	s_barrier                                                  // 000000005CB4: BF8A0000
	v_max3_f32 v49, v84, v85, v52                              // 000000005CB8: D1D30031 04D2AB54
	v_max3_f32 v49, v86, v87, v49                              // 000000005CC0: D1D30031 04C6AF56
	v_max3_f32 v49, v88, v89, v49                              // 000000005CC8: D1D30031 04C6B358
	v_max3_f32 v49, v90, v91, v49                              // 000000005CD0: D1D30031 04C6B75A
	v_max3_f32 v49, v92, v93, v49                              // 000000005CD8: D1D30031 04C6BB5C
	v_max3_f32 v49, v94, v95, v49                              // 000000005CE0: D1D30031 04C6BF5E
	v_max3_f32 v49, v96, v97, v49                              // 000000005CE8: D1D30031 04C6C360
	v_max3_f32 v49, v98, v99, v49                              // 000000005CF0: D1D30031 04C6C762
	v_mfma_f32_32x32x8_bf16 v[100:115], a[144:145], v[68:69], v[100:115]// 000000005CF8: D3E00064 0D928990
	ds_permute_b32 v48, v56, v49                               // 000000005D00: D87C0000 30003138
	v_mfma_f32_32x32x8_bf16 v[100:115], a[146:147], v[70:71], v[100:115]// 000000005D08: D3E00064 0D928D92
	buffer_load_dword v172, v28, s[16:19], s35 offen           // 000000005D10: E0501000 2304AC1C
	v_mfma_f32_32x32x8_bf16 v[100:115], a[148:149], v[72:73], v[100:115]// 000000005D18: D3E00064 0D929194
	v_perm_b32 v180, v165, v164, s50                           // 000000005D20: D1ED00B4 00CB49A5
	v_perm_b32 v184, v165, v164, s49                           // 000000005D28: D1ED00B8 00C749A5
	v_perm_b32 v181, v167, v166, s50                           // 000000005D30: D1ED00B5 00CB4DA7
	v_perm_b32 v185, v167, v166, s49                           // 000000005D38: D1ED00B9 00C74DA7
	v_perm_b32 v182, v169, v168, s50                           // 000000005D40: D1ED00B6 00CB51A9
	v_perm_b32 v186, v169, v168, s49                           // 000000005D48: D1ED00BA 00C751A9
	v_perm_b32 v183, v171, v170, s50                           // 000000005D50: D1ED00B7 00CB55AB
	v_perm_b32 v187, v171, v170, s49                           // 000000005D58: D1ED00BB 00C755AB
	v_mfma_f32_32x32x8_bf16 v[100:115], a[150:151], v[74:75], v[100:115]// 000000005D60: D3E00064 0D929596
	buffer_load_dword v173, v29, s[16:19], s35 offen           // 000000005D68: E0501000 2304AD1D
	v_mfma_f32_32x32x8_bf16 v[116:131], a[152:153], v[68:69], v[116:131]// 000000005D70: D3E00074 0DD28998
	v_mfma_f32_32x32x8_bf16 v[116:131], a[154:155], v[70:71], v[116:131]// 000000005D78: D3E00074 0DD28D9A
	buffer_load_dword v174, v30, s[16:19], s35 offen           // 000000005D80: E0501000 2304AE1E
	s_waitcnt lgkmcnt(0)                                       // 000000005D88: BF8CC07F
	s_nop 0                                                    // 000000005D8C: BF800000
	v_mfma_f32_32x32x8_bf16 v[116:131], a[156:157], v[72:73], v[116:131]// 000000005D90: D3E00074 0DD2919C
	v_mfma_f32_32x32x8_bf16 v[116:131], a[158:159], v[74:75], v[116:131]// 000000005D98: D3E00074 0DD2959E
	buffer_load_dword v175, v31, s[16:19], s35 offen           // 000000005DA0: E0501000 2304AF1F
	ds_read_b128 a[176:179], v37 offset:34432                  // 000000005DA8: DBFE8680 B0000025
	ds_read_b128 a[180:183], v37 offset:36480                  // 000000005DB0: DBFE8E80 B4000025
	ds_read_b128 a[184:187], v37 offset:34688                  // 000000005DB8: DBFE8780 B8000025
	ds_read_b128 a[188:191], v37 offset:36736                  // 000000005DC0: DBFE8F80 BC000025
	v_mfma_f32_32x32x8_bf16 v[132:147], a[160:161], v[68:69], v[132:147]// 000000005DC8: D3E00084 0E1289A0
	v_mfma_f32_32x32x8_bf16 v[132:147], a[162:163], v[70:71], v[132:147]// 000000005DD0: D3E00084 0E128DA2
	buffer_load_dword v176, v32, s[16:19], s35 offen           // 000000005DD8: E0501000 2304B020
	v_mfma_f32_32x32x8_bf16 v[132:147], a[164:165], v[72:73], v[132:147]// 000000005DE0: D3E00084 0E1291A4
	v_mfma_f32_32x32x8_bf16 v[132:147], a[166:167], v[74:75], v[132:147]// 000000005DE8: D3E00084 0E1295A6
	buffer_load_dword v177, v33, s[16:19], s35 offen           // 000000005DF0: E0501000 2304B121
	ds_read_b128 a[192:195], v37 offset:34944                  // 000000005DF8: DBFE8880 C0000025
	ds_read_b128 a[196:199], v37 offset:36992                  // 000000005E00: DBFE9080 C4000025
	ds_read_b128 a[200:203], v37 offset:35200                  // 000000005E08: DBFE8980 C8000025
	ds_read_b128 a[204:207], v37 offset:37248                  // 000000005E10: DBFE9180 CC000025
	v_mfma_f32_32x32x8_bf16 v[148:163], a[168:169], v[68:69], v[148:163]// 000000005E18: D3E00094 0E5289A8
	v_mfma_f32_32x32x8_bf16 v[148:163], a[170:171], v[70:71], v[148:163]// 000000005E20: D3E00094 0E528DAA
	buffer_load_dword v178, v34, s[16:19], s35 offen           // 000000005E28: E0501000 2304B222
	v_mfma_f32_32x32x8_bf16 v[148:163], a[172:173], v[72:73], v[148:163]// 000000005E30: D3E00094 0E5291AC
	v_max_f32_e32 v49, v48, v49                                // 000000005E38: 16626330
	v_sub_f32_e32 v44, v52, v49                                // 000000005E3C: 04586334
	v_mov_b32_e32 v52, v49                                     // 000000005E40: 7E680331
	v_mul_f32_e32 v51, s56, v49                                // 000000005E44: 0A666238
	v_mul_f32_e32 v44, s56, v44                                // 000000005E48: 0A585838
	v_exp_f32_e32 v44, v44                                     // 000000005E4C: 7E58412C
	v_add_f32_e64 v60, 0, -v51                                 // 000000005E50: D101003C 40026680
	v_mov_b32_e32 v61, v60                                     // 000000005E58: 7E7A033C
	s_nop 0                                                    // 000000005E5C: BF800000
	v_pk_fma_f32 v[84:85], v[84:85], s[56:57], v[60:61]        // 000000005E60: D3B04054 1CF07154
	v_pk_fma_f32 v[86:87], v[86:87], s[56:57], v[60:61]        // 000000005E68: D3B04056 1CF07156
	v_pk_fma_f32 v[88:89], v[88:89], s[56:57], v[60:61]        // 000000005E70: D3B04058 1CF07158
	v_pk_fma_f32 v[90:91], v[90:91], s[56:57], v[60:61]        // 000000005E78: D3B0405A 1CF0715A
	v_pk_fma_f32 v[92:93], v[92:93], s[56:57], v[60:61]        // 000000005E80: D3B0405C 1CF0715C
	v_pk_fma_f32 v[94:95], v[94:95], s[56:57], v[60:61]        // 000000005E88: D3B0405E 1CF0715E
	v_pk_fma_f32 v[96:97], v[96:97], s[56:57], v[60:61]        // 000000005E90: D3B04060 1CF07160
	v_pk_fma_f32 v[98:99], v[98:99], s[56:57], v[60:61]        // 000000005E98: D3B04062 1CF07162
	v_mfma_f32_32x32x8_bf16 v[148:163], a[174:175], v[74:75], v[148:163]// 000000005EA0: D3E00094 0E5295AE
	buffer_load_dword v179, v35, s[16:19], s35 offen           // 000000005EA8: E0501000 2304B323
	s_add_i32 s35, s44, s35                                    // 000000005EB0: 8123232C
	s_add_i32 s52, s52, s53                                    // 000000005EB4: 81343534
	s_addk_i32 s39, 0x20                                       // 000000005EB8: B7270020
	s_cmp_lt_i32 s39, s38                                      // 000000005EBC: BF042627
	s_nop 0                                                    // 000000005EC0: BF800000
	v_mov_b32_e32 v45, v44                                     // 000000005EC4: 7E5A032C
	v_mul_f32_e32 v100, v44, v100                              // 000000005EC8: 0AC8C92C
	v_mul_f32_e32 v101, v44, v101                              // 000000005ECC: 0ACACB2C
	v_pk_mul_f32 v[102:103], v[44:45], v[102:103]              // 000000005ED0: D3B14066 1802CD2C
	v_pk_mul_f32 v[104:105], v[44:45], v[104:105]              // 000000005ED8: D3B14068 1802D12C
	v_pk_mul_f32 v[106:107], v[44:45], v[106:107]              // 000000005EE0: D3B1406A 1802D52C
	v_pk_mul_f32 v[108:109], v[44:45], v[108:109]              // 000000005EE8: D3B1406C 1802D92C
	v_pk_mul_f32 v[110:111], v[44:45], v[110:111]              // 000000005EF0: D3B1406E 1802DD2C
	v_pk_mul_f32 v[112:113], v[44:45], v[112:113]              // 000000005EF8: D3B14070 1802E12C
	v_pk_mul_f32 v[114:115], v[44:45], v[114:115]              // 000000005F00: D3B14072 1802E52C
	v_pk_mul_f32 v[116:117], v[44:45], v[116:117]              // 000000005F08: D3B14074 1802E92C
	v_pk_mul_f32 v[118:119], v[44:45], v[118:119]              // 000000005F10: D3B14076 1802ED2C
	v_pk_mul_f32 v[120:121], v[44:45], v[120:121]              // 000000005F18: D3B14078 1802F12C
	v_pk_mul_f32 v[122:123], v[44:45], v[122:123]              // 000000005F20: D3B1407A 1802F52C
	v_pk_mul_f32 v[124:125], v[44:45], v[124:125]              // 000000005F28: D3B1407C 1802F92C
	v_pk_mul_f32 v[126:127], v[44:45], v[126:127]              // 000000005F30: D3B1407E 1802FD2C
	v_pk_mul_f32 v[128:129], v[44:45], v[128:129]              // 000000005F38: D3B14080 1803012C
	v_pk_mul_f32 v[130:131], v[44:45], v[130:131]              // 000000005F40: D3B14082 1803052C
	v_pk_mul_f32 v[132:133], v[44:45], v[132:133]              // 000000005F48: D3B14084 1803092C
	v_pk_mul_f32 v[134:135], v[44:45], v[134:135]              // 000000005F50: D3B14086 18030D2C
	v_pk_mul_f32 v[136:137], v[44:45], v[136:137]              // 000000005F58: D3B14088 1803112C
	v_pk_mul_f32 v[138:139], v[44:45], v[138:139]              // 000000005F60: D3B1408A 1803152C
	v_pk_mul_f32 v[140:141], v[44:45], v[140:141]              // 000000005F68: D3B1408C 1803192C
	v_pk_mul_f32 v[142:143], v[44:45], v[142:143]              // 000000005F70: D3B1408E 18031D2C
	v_pk_mul_f32 v[144:145], v[44:45], v[144:145]              // 000000005F78: D3B14090 1803212C
	v_pk_mul_f32 v[146:147], v[44:45], v[146:147]              // 000000005F80: D3B14092 1803252C
	v_pk_mul_f32 v[148:149], v[44:45], v[148:149]              // 000000005F88: D3B14094 1803292C
	v_pk_mul_f32 v[150:151], v[44:45], v[150:151]              // 000000005F90: D3B14096 18032D2C
	v_pk_mul_f32 v[152:153], v[44:45], v[152:153]              // 000000005F98: D3B14098 1803312C
	v_pk_mul_f32 v[154:155], v[44:45], v[154:155]              // 000000005FA0: D3B1409A 1803352C
	v_pk_mul_f32 v[156:157], v[44:45], v[156:157]              // 000000005FA8: D3B1409C 1803392C
	v_pk_mul_f32 v[158:159], v[44:45], v[158:159]              // 000000005FB0: D3B1409E 18033D2C
	v_pk_mul_f32 v[160:161], v[44:45], v[160:161]              // 000000005FB8: D3B140A0 1803412C
	v_pk_mul_f32 v[162:163], v[44:45], v[162:163]              // 000000005FC0: D3B140A2 1803452C
	s_cbranch_scc0 label_0D3A                                  // 000000005FC8: BF840207
	s_waitcnt vmcnt(8) lgkmcnt(8)                              // 000000005FCC: BF8C0878
	s_barrier                                                  // 000000005FD0: BF8A0000
	v_mfma_f32_32x32x8_bf16 v[68:83], a[48:49], a[0:1], 0      // 000000005FD4: D3E00044 1A020130
	v_mfma_f32_32x32x8_bf16 v[68:83], a[50:51], a[2:3], v[68:83]// 000000005FDC: D3E00044 1D120532
	s_mov_b32 m0, s68                                          // 000000005FE4: BEFC0044
	buffer_load_dword v16, s[12:15], s60 offen lds             // 000000005FE8: E0511000 3C030010
	ds_write_b128 v38, v[180:183] offset:26112                 // 000000005FF0: D9BE6600 0000B426
	v_mfma_f32_32x32x8_bf16 v[68:83], a[52:53], a[4:5], v[68:83]// 000000005FF8: D3E00044 1D120934
	v_mfma_f32_32x32x8_bf16 v[68:83], a[54:55], a[6:7], v[68:83]// 000000006000: D3E00044 1D120D36
	s_add_u32 m0, 0x440, m0                                    // 000000006008: 807C7CFF 00000440
	buffer_load_dword v17, s[12:15], s60 offen lds             // 000000006010: E0511000 3C030011
	ds_write_b128 v38, v[184:187] offset:30272                 // 000000006018: D9BE7640 0000B826
	v_mfma_f32_32x32x8_bf16 v[68:83], a[56:57], a[8:9], v[68:83]// 000000006020: D3E00044 1D121138
	v_mfma_f32_32x32x8_bf16 v[68:83], a[58:59], a[10:11], v[68:83]// 000000006028: D3E00044 1D12153A
	s_add_u32 m0, 0x440, m0                                    // 000000006030: 807C7CFF 00000440
	buffer_load_dword v18, s[12:15], s60 offen lds             // 000000006038: E0511000 3C030012
	ds_read_b128 a[96:99], v36 offset:13056                    // 000000006040: DBFE3300 60000024
	ds_read_b128 a[100:103], v36 offset:13088                  // 000000006048: DBFE3320 64000024
	v_mfma_f32_32x32x8_bf16 v[68:83], a[60:61], a[12:13], v[68:83]// 000000006050: D3E00044 1D12193C
	v_mfma_f32_32x32x8_bf16 v[68:83], a[62:63], a[14:15], v[68:83]// 000000006058: D3E00044 1D121D3E
	s_add_u32 m0, 0x440, m0                                    // 000000006060: 807C7CFF 00000440
	buffer_load_dword v19, s[12:15], s60 offen lds             // 000000006068: E0511000 3C030013
	ds_read_b128 a[104:107], v36 offset:13120                  // 000000006070: DBFE3340 68000024
	ds_read_b128 a[108:111], v36 offset:13152                  // 000000006078: DBFE3360 6C000024
	v_mfma_f32_32x32x8_bf16 v[68:83], a[64:65], a[16:17], v[68:83]// 000000006080: D3E00044 1D122140
	v_mfma_f32_32x32x8_bf16 v[68:83], a[66:67], a[18:19], v[68:83]// 000000006088: D3E00044 1D122542
	s_add_u32 m0, 0x440, m0                                    // 000000006090: 807C7CFF 00000440
	buffer_load_dword v20, s[12:15], s60 offen lds             // 000000006098: E0511000 3C030014
	ds_read_b128 a[112:115], v36 offset:17408                  // 0000000060A0: DBFE4400 70000024
	ds_read_b128 a[116:119], v36 offset:17440                  // 0000000060A8: DBFE4420 74000024
	v_mfma_f32_32x32x8_bf16 v[68:83], a[68:69], a[20:21], v[68:83]// 0000000060B0: D3E00044 1D122944
	v_mfma_f32_32x32x8_bf16 v[68:83], a[70:71], a[22:23], v[68:83]// 0000000060B8: D3E00044 1D122D46
	s_add_u32 m0, 0x440, m0                                    // 0000000060C0: 807C7CFF 00000440
	buffer_load_dword v21, s[12:15], s60 offen lds             // 0000000060C8: E0511000 3C030015
	ds_read_b128 a[120:123], v36 offset:17472                  // 0000000060D0: DBFE4440 78000024
	ds_read_b128 a[124:127], v36 offset:17504                  // 0000000060D8: DBFE4460 7C000024
	v_mfma_f32_32x32x8_bf16 v[68:83], a[72:73], a[24:25], v[68:83]// 0000000060E0: D3E00044 1D123148
	v_mfma_f32_32x32x8_bf16 v[68:83], a[74:75], a[26:27], v[68:83]// 0000000060E8: D3E00044 1D12354A
	s_add_u32 m0, 0x440, m0                                    // 0000000060F0: 807C7CFF 00000440
	buffer_load_dword v22, s[12:15], s60 offen lds             // 0000000060F8: E0511000 3C030016
	ds_read_b128 a[128:131], v36 offset:21760                  // 000000006100: DBFE5500 80000024
	ds_read_b128 a[132:135], v36 offset:21792                  // 000000006108: DBFE5520 84000024
	v_mfma_f32_32x32x8_bf16 v[68:83], a[76:77], a[28:29], v[68:83]// 000000006110: D3E00044 1D12394C
	v_mfma_f32_32x32x8_bf16 v[68:83], a[78:79], a[30:31], v[68:83]// 000000006118: D3E00044 1D123D4E
	s_add_u32 m0, 0x440, m0                                    // 000000006120: 807C7CFF 00000440
	buffer_load_dword v23, s[12:15], s60 offen lds             // 000000006128: E0511000 3C030017
	ds_read_b128 a[136:139], v36 offset:21824                  // 000000006130: DBFE5540 88000024
	ds_read_b128 a[140:143], v36 offset:21856                  // 000000006138: DBFE5560 8C000024
	v_mfma_f32_32x32x8_bf16 v[68:83], a[80:81], a[32:33], v[68:83]// 000000006140: D3E00044 1D124150
	v_mfma_f32_32x32x8_bf16 v[68:83], a[82:83], a[34:35], v[68:83]// 000000006148: D3E00044 1D124552
	s_add_u32 m0, 0x440, m0                                    // 000000006150: 807C7CFF 00000440
	buffer_load_dword v24, s[12:15], s60 offen lds             // 000000006158: E0511000 3C030018
	v_mfma_f32_32x32x8_bf16 v[68:83], a[84:85], a[36:37], v[68:83]// 000000006160: D3E00044 1D124954
	v_mfma_f32_32x32x8_bf16 v[68:83], a[86:87], a[38:39], v[68:83]// 000000006168: D3E00044 1D124D56
	s_add_u32 m0, 0x440, m0                                    // 000000006170: 807C7CFF 00000440
	buffer_load_dword v25, s[12:15], s60 offen lds             // 000000006178: E0511000 3C030019
	v_mfma_f32_32x32x8_bf16 v[68:83], a[88:89], a[40:41], v[68:83]// 000000006180: D3E00044 1D125158
	v_mfma_f32_32x32x8_bf16 v[68:83], a[90:91], a[42:43], v[68:83]// 000000006188: D3E00044 1D12555A
	s_add_u32 m0, 0x440, m0                                    // 000000006190: 807C7CFF 00000440
	buffer_load_dword v26, s[12:15], s60 offen lds             // 000000006198: E0511000 3C03001A
	v_mfma_f32_32x32x8_bf16 v[68:83], a[92:93], a[44:45], v[68:83]// 0000000061A0: D3E00044 1D12595C
	s_nop 0                                                    // 0000000061A8: BF800000
	v_exp_f32_e32 v84, v84                                     // 0000000061AC: 7EA84154
	v_exp_f32_e32 v85, v85                                     // 0000000061B0: 7EAA4155
	v_exp_f32_e32 v86, v86                                     // 0000000061B4: 7EAC4156
	v_exp_f32_e32 v87, v87                                     // 0000000061B8: 7EAE4157
	v_exp_f32_e32 v88, v88                                     // 0000000061BC: 7EB04158
	v_exp_f32_e32 v89, v89                                     // 0000000061C0: 7EB24159
	v_exp_f32_e32 v90, v90                                     // 0000000061C4: 7EB4415A
	v_exp_f32_e32 v91, v91                                     // 0000000061C8: 7EB6415B
	v_exp_f32_e32 v92, v92                                     // 0000000061CC: 7EB8415C
	v_exp_f32_e32 v93, v93                                     // 0000000061D0: 7EBA415D
	v_exp_f32_e32 v94, v94                                     // 0000000061D4: 7EBC415E
	v_exp_f32_e32 v95, v95                                     // 0000000061D8: 7EBE415F
	v_exp_f32_e32 v96, v96                                     // 0000000061DC: 7EC04160
	v_exp_f32_e32 v97, v97                                     // 0000000061E0: 7EC24161
	v_exp_f32_e32 v98, v98                                     // 0000000061E4: 7EC44162
	v_exp_f32_e32 v99, v99                                     // 0000000061E8: 7EC64163
	v_mul_f32_e32 v46, v44, v46                                // 0000000061EC: 0A5C5D2C
	v_pk_add_f32 v[62:63], v[84:85], v[86:87]                  // 0000000061F0: D3B2403E 1802AD54
	v_pk_add_f32 v[62:63], v[88:89], v[62:63]                  // 0000000061F8: D3B2403E 18027D58
	v_pk_add_f32 v[62:63], v[90:91], v[62:63]                  // 000000006200: D3B2403E 18027D5A
	v_pk_add_f32 v[62:63], v[92:93], v[62:63]                  // 000000006208: D3B2403E 18027D5C
	v_pk_add_f32 v[62:63], v[94:95], v[62:63]                  // 000000006210: D3B2403E 18027D5E
	v_pk_add_f32 v[62:63], v[96:97], v[62:63]                  // 000000006218: D3B2403E 18027D60
	v_pk_add_f32 v[62:63], v[98:99], v[62:63]                  // 000000006220: D3B2403E 18027D62
	v_add_f32_e32 v62, v62, v63                                // 000000006228: 027C7F3E
	v_add_f32_e32 v46, v62, v46                                // 00000000622C: 025C5D3E
	v_perm_b32 v84, v85, v84, s49                              // 000000006230: D1ED0054 00C6A955
	v_perm_b32 v85, v87, v86, s49                              // 000000006238: D1ED0055 00C6AD57
	v_perm_b32 v86, v89, v88, s49                              // 000000006240: D1ED0056 00C6B159
	v_perm_b32 v87, v91, v90, s49                              // 000000006248: D1ED0057 00C6B55B
	v_perm_b32 v88, v93, v92, s49                              // 000000006250: D1ED0058 00C6B95D
	v_perm_b32 v89, v95, v94, s49                              // 000000006258: D1ED0059 00C6BD5F
	v_perm_b32 v90, v97, v96, s49                              // 000000006260: D1ED005A 00C6C161
	v_perm_b32 v91, v99, v98, s49                              // 000000006268: D1ED005B 00C6C563
	v_mfma_f32_32x32x8_bf16 v[68:83], a[94:95], a[46:47], v[68:83]// 000000006270: D3E00044 1D125D5E
	s_add_u32 m0, 0x440, m0                                    // 000000006278: 807C7CFF 00000440
	buffer_load_dword v27, s[12:15], s60 offen lds             // 000000006280: E0511000 3C03001B
	s_add_i32 s60, s43, s60                                    // 000000006288: 813C3C2B
	s_cmp_lt_i32 s52, s51                                      // 00000000628C: BF043334
	s_cbranch_scc1 label_0C72                                  // 000000006290: BF85008D
	s_nop 0                                                    // 000000006294: BF800000
	s_sub_i32 s40, s51, s52                                    // 000000006298: 81A83433
	s_sub_i32 s41, s7, s30                                     // 00000000629C: 81A91E07
	s_and_b32 s41, s41, 31                                     // 0000000062A0: 86299F29
	s_add_i32 s40, s40, s41                                    // 0000000062A4: 81282928
	v_add_i32 v40, v53, s40                                    // 0000000062A8: D29C0028 00005135
	v_cmp_lt_i32_e64 s[72:73], v40, 0                          // 0000000062B0: D0C10048 00010128
	v_cmp_lt_i32_e64 s[74:75], v40, 1                          // 0000000062B8: D0C1004A 00010328
	v_cndmask_b32_e64 v68, v68, v55, s[72:73]                  // 0000000062C0: D1000044 01226F44
	v_cndmask_b32_e64 v69, v69, v55, s[74:75]                  // 0000000062C8: D1000045 012A6F45
	v_cmp_lt_i32_e64 s[72:73], v40, 2                          // 0000000062D0: D0C10048 00010528
	v_cmp_lt_i32_e64 s[74:75], v40, 3                          // 0000000062D8: D0C1004A 00010728
	v_cndmask_b32_e64 v70, v70, v55, s[72:73]                  // 0000000062E0: D1000046 01226F46
	v_cndmask_b32_e64 v71, v71, v55, s[74:75]                  // 0000000062E8: D1000047 012A6F47
	v_cmp_lt_i32_e64 s[72:73], v40, 8                          // 0000000062F0: D0C10048 00011128
	v_cmp_lt_i32_e64 s[74:75], v40, 9                          // 0000000062F8: D0C1004A 00011328
	v_cndmask_b32_e64 v72, v72, v55, s[72:73]                  // 000000006300: D1000048 01226F48
	v_cndmask_b32_e64 v73, v73, v55, s[74:75]                  // 000000006308: D1000049 012A6F49
	v_cmp_lt_i32_e64 s[72:73], v40, 10                         // 000000006310: D0C10048 00011528
	v_cmp_lt_i32_e64 s[74:75], v40, 11                         // 000000006318: D0C1004A 00011728
	v_cndmask_b32_e64 v74, v74, v55, s[72:73]                  // 000000006320: D100004A 01226F4A
	v_cndmask_b32_e64 v75, v75, v55, s[74:75]                  // 000000006328: D100004B 012A6F4B
	v_cmp_lt_i32_e64 s[72:73], v40, 16                         // 000000006330: D0C10048 00012128
	v_cmp_lt_i32_e64 s[74:75], v40, 17                         // 000000006338: D0C1004A 00012328
	v_cndmask_b32_e64 v76, v76, v55, s[72:73]                  // 000000006340: D100004C 01226F4C
	v_cndmask_b32_e64 v77, v77, v55, s[74:75]                  // 000000006348: D100004D 012A6F4D
	v_cmp_lt_i32_e64 s[72:73], v40, 18                         // 000000006350: D0C10048 00012528
	v_cmp_lt_i32_e64 s[74:75], v40, 19                         // 000000006358: D0C1004A 00012728
	v_cndmask_b32_e64 v78, v78, v55, s[72:73]                  // 000000006360: D100004E 01226F4E
	v_cndmask_b32_e64 v79, v79, v55, s[74:75]                  // 000000006368: D100004F 012A6F4F
	v_cmp_lt_i32_e64 s[72:73], v40, 24                         // 000000006370: D0C10048 00013128
	v_cmp_lt_i32_e64 s[74:75], v40, 25                         // 000000006378: D0C1004A 00013328
	v_cndmask_b32_e64 v80, v80, v55, s[72:73]                  // 000000006380: D1000050 01226F50
	v_cndmask_b32_e64 v81, v81, v55, s[74:75]                  // 000000006388: D1000051 012A6F51
	v_cmp_lt_i32_e64 s[72:73], v40, 26                         // 000000006390: D0C10048 00013528
	v_cmp_lt_i32_e64 s[74:75], v40, 27                         // 000000006398: D0C1004A 00013728
	v_cndmask_b32_e64 v82, v82, v55, s[72:73]                  // 0000000063A0: D1000052 01226F52
	v_cndmask_b32_e64 v83, v83, v55, s[74:75]                  // 0000000063A8: D1000053 012A6F53
	s_nop 0                                                    // 0000000063B0: BF800000
	s_cmp_lt_i32 s52, s54                                      // 0000000063B4: BF043634
	s_cbranch_scc1 label_0C72                                  // 0000000063B8: BF850043
	s_sub_i32 s40, s7, s52                                     // 0000000063BC: 81A83407
	v_sub_i32 v40, s40, v54                                    // 0000000063C0: D29D0028 00026C28
	v_cmp_lt_i32_e64 s[72:73], 0, v40                          // 0000000063C8: D0C10048 00025080
	v_cmp_lt_i32_e64 s[74:75], 1, v40                          // 0000000063D0: D0C1004A 00025081
	v_cndmask_b32_e64 v68, v55, v68, s[72:73]                  // 0000000063D8: D1000044 01228937
	v_cndmask_b32_e64 v69, v55, v69, s[74:75]                  // 0000000063E0: D1000045 012A8B37
	v_cmp_lt_i32_e64 s[72:73], 2, v40                          // 0000000063E8: D0C10048 00025082
	v_cmp_lt_i32_e64 s[74:75], 3, v40                          // 0000000063F0: D0C1004A 00025083
	v_cndmask_b32_e64 v70, v55, v70, s[72:73]                  // 0000000063F8: D1000046 01228D37
	v_cndmask_b32_e64 v71, v55, v71, s[74:75]                  // 000000006400: D1000047 012A8F37
	v_cmp_lt_i32_e64 s[72:73], 8, v40                          // 000000006408: D0C10048 00025088
	v_cmp_lt_i32_e64 s[74:75], 9, v40                          // 000000006410: D0C1004A 00025089
	v_cndmask_b32_e64 v72, v55, v72, s[72:73]                  // 000000006418: D1000048 01229137
	v_cndmask_b32_e64 v73, v55, v73, s[74:75]                  // 000000006420: D1000049 012A9337
	v_cmp_lt_i32_e64 s[72:73], 10, v40                         // 000000006428: D0C10048 0002508A
	v_cmp_lt_i32_e64 s[74:75], 11, v40                         // 000000006430: D0C1004A 0002508B
	v_cndmask_b32_e64 v74, v55, v74, s[72:73]                  // 000000006438: D100004A 01229537
	v_cndmask_b32_e64 v75, v55, v75, s[74:75]                  // 000000006440: D100004B 012A9737
	v_cmp_lt_i32_e64 s[72:73], 16, v40                         // 000000006448: D0C10048 00025090
	v_cmp_lt_i32_e64 s[74:75], 17, v40                         // 000000006450: D0C1004A 00025091
	v_cndmask_b32_e64 v76, v55, v76, s[72:73]                  // 000000006458: D100004C 01229937
	v_cndmask_b32_e64 v77, v55, v77, s[74:75]                  // 000000006460: D100004D 012A9B37
	v_cmp_lt_i32_e64 s[72:73], 18, v40                         // 000000006468: D0C10048 00025092
	v_cmp_lt_i32_e64 s[74:75], 19, v40                         // 000000006470: D0C1004A 00025093
	v_cndmask_b32_e64 v78, v55, v78, s[72:73]                  // 000000006478: D100004E 01229D37
	v_cndmask_b32_e64 v79, v55, v79, s[74:75]                  // 000000006480: D100004F 012A9F37
	v_cmp_lt_i32_e64 s[72:73], 24, v40                         // 000000006488: D0C10048 00025098
	v_cmp_lt_i32_e64 s[74:75], 25, v40                         // 000000006490: D0C1004A 00025099
	v_cndmask_b32_e64 v80, v55, v80, s[72:73]                  // 000000006498: D1000050 0122A137
	v_cndmask_b32_e64 v81, v55, v81, s[74:75]                  // 0000000064A0: D1000051 012AA337
	v_cmp_lt_i32_e64 s[72:73], 26, v40                         // 0000000064A8: D0C10048 0002509A
	v_cmp_lt_i32_e64 s[74:75], 27, v40                         // 0000000064B0: D0C1004A 0002509B
	v_cndmask_b32_e64 v82, v55, v82, s[72:73]                  // 0000000064B8: D1000052 0122A537
	v_cndmask_b32_e64 v83, v55, v83, s[74:75]                  // 0000000064C0: D1000053 012AA737

00000000000064c8 <label_0C72>:
	s_waitcnt vmcnt(12) lgkmcnt(12)                            // 0000000064C8: BF8C0C7C
	s_barrier                                                  // 0000000064CC: BF8A0000
	v_max3_f32 v49, v68, v69, v52                              // 0000000064D0: D1D30031 04D28B44
	v_max3_f32 v49, v70, v71, v49                              // 0000000064D8: D1D30031 04C68F46
	v_max3_f32 v49, v72, v73, v49                              // 0000000064E0: D1D30031 04C69348
	v_max3_f32 v49, v74, v75, v49                              // 0000000064E8: D1D30031 04C6974A
	v_max3_f32 v49, v76, v77, v49                              // 0000000064F0: D1D30031 04C69B4C
	v_max3_f32 v49, v78, v79, v49                              // 0000000064F8: D1D30031 04C69F4E
	v_max3_f32 v49, v80, v81, v49                              // 000000006500: D1D30031 04C6A350
	v_max3_f32 v49, v82, v83, v49                              // 000000006508: D1D30031 04C6A752
	v_mfma_f32_32x32x8_bf16 v[100:115], a[176:177], v[84:85], v[100:115]// 000000006510: D3E00064 0D92A9B0
	ds_permute_b32 v48, v56, v49                               // 000000006518: D87C0000 30003138
	v_mfma_f32_32x32x8_bf16 v[100:115], a[178:179], v[86:87], v[100:115]// 000000006520: D3E00064 0D92ADB2
	buffer_load_dword v164, v28, s[16:19], s35 offen           // 000000006528: E0501000 2304A41C
	v_mfma_f32_32x32x8_bf16 v[100:115], a[180:181], v[88:89], v[100:115]// 000000006530: D3E00064 0D92B1B4
	v_perm_b32 v188, v173, v172, s50                           // 000000006538: D1ED00BC 00CB59AD
	v_perm_b32 v192, v173, v172, s49                           // 000000006540: D1ED00C0 00C759AD
	v_perm_b32 v189, v175, v174, s50                           // 000000006548: D1ED00BD 00CB5DAF
	v_perm_b32 v193, v175, v174, s49                           // 000000006550: D1ED00C1 00C75DAF
	v_perm_b32 v190, v177, v176, s50                           // 000000006558: D1ED00BE 00CB61B1
	v_perm_b32 v194, v177, v176, s49                           // 000000006560: D1ED00C2 00C761B1
	v_perm_b32 v191, v179, v178, s50                           // 000000006568: D1ED00BF 00CB65B3
	v_perm_b32 v195, v179, v178, s49                           // 000000006570: D1ED00C3 00C765B3
	v_mfma_f32_32x32x8_bf16 v[100:115], a[182:183], v[90:91], v[100:115]// 000000006578: D3E00064 0D92B5B6
	buffer_load_dword v165, v29, s[16:19], s35 offen           // 000000006580: E0501000 2304A51D
	v_mfma_f32_32x32x8_bf16 v[116:131], a[184:185], v[84:85], v[116:131]// 000000006588: D3E00074 0DD2A9B8
	v_mfma_f32_32x32x8_bf16 v[116:131], a[186:187], v[86:87], v[116:131]// 000000006590: D3E00074 0DD2ADBA
	buffer_load_dword v166, v30, s[16:19], s35 offen           // 000000006598: E0501000 2304A61E
	s_waitcnt lgkmcnt(0)                                       // 0000000065A0: BF8CC07F
	s_nop 0                                                    // 0000000065A4: BF800000
	v_mfma_f32_32x32x8_bf16 v[116:131], a[188:189], v[88:89], v[116:131]// 0000000065A8: D3E00074 0DD2B1BC
	v_mfma_f32_32x32x8_bf16 v[116:131], a[190:191], v[90:91], v[116:131]// 0000000065B0: D3E00074 0DD2B5BE
	buffer_load_dword v167, v31, s[16:19], s35 offen           // 0000000065B8: E0501000 2304A71F
	ds_read_b128 a[144:147], v37 offset:26112                  // 0000000065C0: DBFE6600 90000025
	ds_read_b128 a[148:151], v37 offset:28160                  // 0000000065C8: DBFE6E00 94000025
	ds_read_b128 a[152:155], v37 offset:26368                  // 0000000065D0: DBFE6700 98000025
	ds_read_b128 a[156:159], v37 offset:28416                  // 0000000065D8: DBFE6F00 9C000025
	v_mfma_f32_32x32x8_bf16 v[132:147], a[192:193], v[84:85], v[132:147]// 0000000065E0: D3E00084 0E12A9C0
	v_mfma_f32_32x32x8_bf16 v[132:147], a[194:195], v[86:87], v[132:147]// 0000000065E8: D3E00084 0E12ADC2
	buffer_load_dword v168, v32, s[16:19], s35 offen           // 0000000065F0: E0501000 2304A820
	v_mfma_f32_32x32x8_bf16 v[132:147], a[196:197], v[88:89], v[132:147]// 0000000065F8: D3E00084 0E12B1C4
	v_mfma_f32_32x32x8_bf16 v[132:147], a[198:199], v[90:91], v[132:147]// 000000006600: D3E00084 0E12B5C6
	buffer_load_dword v169, v33, s[16:19], s35 offen           // 000000006608: E0501000 2304A921
	ds_read_b128 a[160:163], v37 offset:26624                  // 000000006610: DBFE6800 A0000025
	ds_read_b128 a[164:167], v37 offset:28672                  // 000000006618: DBFE7000 A4000025
	ds_read_b128 a[168:171], v37 offset:26880                  // 000000006620: DBFE6900 A8000025
	ds_read_b128 a[172:175], v37 offset:28928                  // 000000006628: DBFE7100 AC000025
	v_mfma_f32_32x32x8_bf16 v[148:163], a[200:201], v[84:85], v[148:163]// 000000006630: D3E00094 0E52A9C8
	v_mfma_f32_32x32x8_bf16 v[148:163], a[202:203], v[86:87], v[148:163]// 000000006638: D3E00094 0E52ADCA
	buffer_load_dword v170, v34, s[16:19], s35 offen           // 000000006640: E0501000 2304AA22
	v_mfma_f32_32x32x8_bf16 v[148:163], a[204:205], v[88:89], v[148:163]// 000000006648: D3E00094 0E52B1CC
	v_max_f32_e32 v49, v48, v49                                // 000000006650: 16626330
	v_sub_f32_e32 v44, v52, v49                                // 000000006654: 04586334
	v_mov_b32_e32 v52, v49                                     // 000000006658: 7E680331
	v_mul_f32_e32 v51, s56, v49                                // 00000000665C: 0A666238
	v_mul_f32_e32 v44, s56, v44                                // 000000006660: 0A585838
	v_exp_f32_e32 v44, v44                                     // 000000006664: 7E58412C
	v_add_f32_e64 v60, 0, -v51                                 // 000000006668: D101003C 40026680
	v_mov_b32_e32 v61, v60                                     // 000000006670: 7E7A033C
	s_nop 0                                                    // 000000006674: BF800000
	v_pk_fma_f32 v[68:69], v[68:69], s[56:57], v[60:61]        // 000000006678: D3B04044 1CF07144
	v_pk_fma_f32 v[70:71], v[70:71], s[56:57], v[60:61]        // 000000006680: D3B04046 1CF07146
	v_pk_fma_f32 v[72:73], v[72:73], s[56:57], v[60:61]        // 000000006688: D3B04048 1CF07148
	v_pk_fma_f32 v[74:75], v[74:75], s[56:57], v[60:61]        // 000000006690: D3B0404A 1CF0714A
	v_pk_fma_f32 v[76:77], v[76:77], s[56:57], v[60:61]        // 000000006698: D3B0404C 1CF0714C
	v_pk_fma_f32 v[78:79], v[78:79], s[56:57], v[60:61]        // 0000000066A0: D3B0404E 1CF0714E
	v_pk_fma_f32 v[80:81], v[80:81], s[56:57], v[60:61]        // 0000000066A8: D3B04050 1CF07150
	v_pk_fma_f32 v[82:83], v[82:83], s[56:57], v[60:61]        // 0000000066B0: D3B04052 1CF07152
	v_mfma_f32_32x32x8_bf16 v[148:163], a[206:207], v[90:91], v[148:163]// 0000000066B8: D3E00094 0E52B5CE
	buffer_load_dword v171, v35, s[16:19], s35 offen           // 0000000066C0: E0501000 2304AB23
	s_add_i32 s35, s44, s35                                    // 0000000066C8: 8123232C
	s_add_i32 s52, s52, s53                                    // 0000000066CC: 81343534
	s_addk_i32 s39, 0x20                                       // 0000000066D0: B7270020
	s_cmp_lt_i32 s39, s38                                      // 0000000066D4: BF042627
	s_nop 0                                                    // 0000000066D8: BF800000
	v_mov_b32_e32 v45, v44                                     // 0000000066DC: 7E5A032C
	v_mul_f32_e32 v100, v44, v100                              // 0000000066E0: 0AC8C92C
	v_mul_f32_e32 v101, v44, v101                              // 0000000066E4: 0ACACB2C
	v_pk_mul_f32 v[102:103], v[44:45], v[102:103]              // 0000000066E8: D3B14066 1802CD2C
	v_pk_mul_f32 v[104:105], v[44:45], v[104:105]              // 0000000066F0: D3B14068 1802D12C
	v_pk_mul_f32 v[106:107], v[44:45], v[106:107]              // 0000000066F8: D3B1406A 1802D52C
	v_pk_mul_f32 v[108:109], v[44:45], v[108:109]              // 000000006700: D3B1406C 1802D92C
	v_pk_mul_f32 v[110:111], v[44:45], v[110:111]              // 000000006708: D3B1406E 1802DD2C
	v_pk_mul_f32 v[112:113], v[44:45], v[112:113]              // 000000006710: D3B14070 1802E12C
	v_pk_mul_f32 v[114:115], v[44:45], v[114:115]              // 000000006718: D3B14072 1802E52C
	v_pk_mul_f32 v[116:117], v[44:45], v[116:117]              // 000000006720: D3B14074 1802E92C
	v_pk_mul_f32 v[118:119], v[44:45], v[118:119]              // 000000006728: D3B14076 1802ED2C
	v_pk_mul_f32 v[120:121], v[44:45], v[120:121]              // 000000006730: D3B14078 1802F12C
	v_pk_mul_f32 v[122:123], v[44:45], v[122:123]              // 000000006738: D3B1407A 1802F52C
	v_pk_mul_f32 v[124:125], v[44:45], v[124:125]              // 000000006740: D3B1407C 1802F92C
	v_pk_mul_f32 v[126:127], v[44:45], v[126:127]              // 000000006748: D3B1407E 1802FD2C
	v_pk_mul_f32 v[128:129], v[44:45], v[128:129]              // 000000006750: D3B14080 1803012C
	v_pk_mul_f32 v[130:131], v[44:45], v[130:131]              // 000000006758: D3B14082 1803052C
	v_pk_mul_f32 v[132:133], v[44:45], v[132:133]              // 000000006760: D3B14084 1803092C
	v_pk_mul_f32 v[134:135], v[44:45], v[134:135]              // 000000006768: D3B14086 18030D2C
	v_pk_mul_f32 v[136:137], v[44:45], v[136:137]              // 000000006770: D3B14088 1803112C
	v_pk_mul_f32 v[138:139], v[44:45], v[138:139]              // 000000006778: D3B1408A 1803152C
	v_pk_mul_f32 v[140:141], v[44:45], v[140:141]              // 000000006780: D3B1408C 1803192C
	v_pk_mul_f32 v[142:143], v[44:45], v[142:143]              // 000000006788: D3B1408E 18031D2C
	v_pk_mul_f32 v[144:145], v[44:45], v[144:145]              // 000000006790: D3B14090 1803212C
	v_pk_mul_f32 v[146:147], v[44:45], v[146:147]              // 000000006798: D3B14092 1803252C
	v_pk_mul_f32 v[148:149], v[44:45], v[148:149]              // 0000000067A0: D3B14094 1803292C
	v_pk_mul_f32 v[150:151], v[44:45], v[150:151]              // 0000000067A8: D3B14096 18032D2C
	v_pk_mul_f32 v[152:153], v[44:45], v[152:153]              // 0000000067B0: D3B14098 1803312C
	v_pk_mul_f32 v[154:155], v[44:45], v[154:155]              // 0000000067B8: D3B1409A 1803352C
	v_pk_mul_f32 v[156:157], v[44:45], v[156:157]              // 0000000067C0: D3B1409C 1803392C
	v_pk_mul_f32 v[158:159], v[44:45], v[158:159]              // 0000000067C8: D3B1409E 18033D2C
	v_pk_mul_f32 v[160:161], v[44:45], v[160:161]              // 0000000067D0: D3B140A0 1803412C
	v_pk_mul_f32 v[162:163], v[44:45], v[162:163]              // 0000000067D8: D3B140A2 1803452C
	s_cbranch_scc0 label_0D3A                                  // 0000000067E0: BF840001
	s_branch label_092D                                        // 0000000067E4: BF82FBF3

00000000000067e8 <label_0D3A>:
	s_add_u32 s40, s38, 31                                     // 0000000067E8: 80289F26
	s_lshr_b32 s40, s40, 5                                     // 0000000067EC: 8F288528
	s_and_b32 s40, 1, s40                                      // 0000000067F0: 86282881
	s_cmp_lt_i32 s40, 1                                        // 0000000067F4: BF048128
	s_cbranch_scc0 label_0D95                                  // 0000000067F8: BF840056
	s_nop 0                                                    // 0000000067FC: BF800000
	s_nop 0                                                    // 000000006800: BF800000
	v_exp_f32_e32 v84, v84                                     // 000000006804: 7EA84154
	v_exp_f32_e32 v85, v85                                     // 000000006808: 7EAA4155
	v_exp_f32_e32 v86, v86                                     // 00000000680C: 7EAC4156
	v_exp_f32_e32 v87, v87                                     // 000000006810: 7EAE4157
	v_exp_f32_e32 v88, v88                                     // 000000006814: 7EB04158
	v_exp_f32_e32 v89, v89                                     // 000000006818: 7EB24159
	v_exp_f32_e32 v90, v90                                     // 00000000681C: 7EB4415A
	v_exp_f32_e32 v91, v91                                     // 000000006820: 7EB6415B
	v_exp_f32_e32 v92, v92                                     // 000000006824: 7EB8415C
	v_exp_f32_e32 v93, v93                                     // 000000006828: 7EBA415D
	v_exp_f32_e32 v94, v94                                     // 00000000682C: 7EBC415E
	v_exp_f32_e32 v95, v95                                     // 000000006830: 7EBE415F
	v_exp_f32_e32 v96, v96                                     // 000000006834: 7EC04160
	v_exp_f32_e32 v97, v97                                     // 000000006838: 7EC24161
	v_exp_f32_e32 v98, v98                                     // 00000000683C: 7EC44162
	v_exp_f32_e32 v99, v99                                     // 000000006840: 7EC64163
	v_mul_f32_e32 v46, v44, v46                                // 000000006844: 0A5C5D2C
	v_pk_add_f32 v[62:63], v[84:85], v[86:87]                  // 000000006848: D3B2403E 1802AD54
	v_pk_add_f32 v[62:63], v[88:89], v[62:63]                  // 000000006850: D3B2403E 18027D58
	v_pk_add_f32 v[62:63], v[90:91], v[62:63]                  // 000000006858: D3B2403E 18027D5A
	v_pk_add_f32 v[62:63], v[92:93], v[62:63]                  // 000000006860: D3B2403E 18027D5C
	v_pk_add_f32 v[62:63], v[94:95], v[62:63]                  // 000000006868: D3B2403E 18027D5E
	v_pk_add_f32 v[62:63], v[96:97], v[62:63]                  // 000000006870: D3B2403E 18027D60
	v_pk_add_f32 v[62:63], v[98:99], v[62:63]                  // 000000006878: D3B2403E 18027D62
	v_add_f32_e32 v62, v62, v63                                // 000000006880: 027C7F3E
	v_add_f32_e32 v46, v62, v46                                // 000000006884: 025C5D3E
	v_perm_b32 v84, v85, v84, s49                              // 000000006888: D1ED0054 00C6A955
	v_perm_b32 v85, v87, v86, s49                              // 000000006890: D1ED0055 00C6AD57
	v_perm_b32 v86, v89, v88, s49                              // 000000006898: D1ED0056 00C6B159
	v_perm_b32 v87, v91, v90, s49                              // 0000000068A0: D1ED0057 00C6B55B
	v_perm_b32 v88, v93, v92, s49                              // 0000000068A8: D1ED0058 00C6B95D
	v_perm_b32 v89, v95, v94, s49                              // 0000000068B0: D1ED0059 00C6BD5F
	v_perm_b32 v90, v97, v96, s49                              // 0000000068B8: D1ED005A 00C6C161
	v_perm_b32 v91, v99, v98, s49                              // 0000000068C0: D1ED005B 00C6C563
	s_waitcnt lgkmcnt(0)                                       // 0000000068C8: BF8CC07F
	s_nop 0                                                    // 0000000068CC: BF800000
	v_mfma_f32_32x32x8_bf16 v[100:115], a[176:177], v[84:85], v[100:115]// 0000000068D0: D3E00064 0D92A9B0
	v_mfma_f32_32x32x8_bf16 v[100:115], a[178:179], v[86:87], v[100:115]// 0000000068D8: D3E00064 0D92ADB2
	v_mfma_f32_32x32x8_bf16 v[100:115], a[180:181], v[88:89], v[100:115]// 0000000068E0: D3E00064 0D92B1B4
	v_mfma_f32_32x32x8_bf16 v[100:115], a[182:183], v[90:91], v[100:115]// 0000000068E8: D3E00064 0D92B5B6
	v_mfma_f32_32x32x8_bf16 v[116:131], a[184:185], v[84:85], v[116:131]// 0000000068F0: D3E00074 0DD2A9B8
	v_mfma_f32_32x32x8_bf16 v[116:131], a[186:187], v[86:87], v[116:131]// 0000000068F8: D3E00074 0DD2ADBA
	v_mfma_f32_32x32x8_bf16 v[116:131], a[188:189], v[88:89], v[116:131]// 000000006900: D3E00074 0DD2B1BC
	v_mfma_f32_32x32x8_bf16 v[116:131], a[190:191], v[90:91], v[116:131]// 000000006908: D3E00074 0DD2B5BE
	v_mfma_f32_32x32x8_bf16 v[132:147], a[192:193], v[84:85], v[132:147]// 000000006910: D3E00084 0E12A9C0
	v_mfma_f32_32x32x8_bf16 v[132:147], a[194:195], v[86:87], v[132:147]// 000000006918: D3E00084 0E12ADC2
	v_mfma_f32_32x32x8_bf16 v[132:147], a[196:197], v[88:89], v[132:147]// 000000006920: D3E00084 0E12B1C4
	v_mfma_f32_32x32x8_bf16 v[132:147], a[198:199], v[90:91], v[132:147]// 000000006928: D3E00084 0E12B5C6
	v_mfma_f32_32x32x8_bf16 v[148:163], a[200:201], v[84:85], v[148:163]// 000000006930: D3E00094 0E52A9C8
	v_mfma_f32_32x32x8_bf16 v[148:163], a[202:203], v[86:87], v[148:163]// 000000006938: D3E00094 0E52ADCA
	v_mfma_f32_32x32x8_bf16 v[148:163], a[204:205], v[88:89], v[148:163]// 000000006940: D3E00094 0E52B1CC
	v_mfma_f32_32x32x8_bf16 v[148:163], a[206:207], v[90:91], v[148:163]// 000000006948: D3E00094 0E52B5CE
	s_branch label_0DEA                                        // 000000006950: BF820055

0000000000006954 <label_0D95>:
	s_nop 0                                                    // 000000006954: BF800000
	s_nop 0                                                    // 000000006958: BF800000
	v_exp_f32_e32 v68, v68                                     // 00000000695C: 7E884144
	v_exp_f32_e32 v69, v69                                     // 000000006960: 7E8A4145
	v_exp_f32_e32 v70, v70                                     // 000000006964: 7E8C4146
	v_exp_f32_e32 v71, v71                                     // 000000006968: 7E8E4147
	v_exp_f32_e32 v72, v72                                     // 00000000696C: 7E904148
	v_exp_f32_e32 v73, v73                                     // 000000006970: 7E924149
	v_exp_f32_e32 v74, v74                                     // 000000006974: 7E94414A
	v_exp_f32_e32 v75, v75                                     // 000000006978: 7E96414B
	v_exp_f32_e32 v76, v76                                     // 00000000697C: 7E98414C
	v_exp_f32_e32 v77, v77                                     // 000000006980: 7E9A414D
	v_exp_f32_e32 v78, v78                                     // 000000006984: 7E9C414E
	v_exp_f32_e32 v79, v79                                     // 000000006988: 7E9E414F
	v_exp_f32_e32 v80, v80                                     // 00000000698C: 7EA04150
	v_exp_f32_e32 v81, v81                                     // 000000006990: 7EA24151
	v_exp_f32_e32 v82, v82                                     // 000000006994: 7EA44152
	v_exp_f32_e32 v83, v83                                     // 000000006998: 7EA64153
	v_mul_f32_e32 v46, v44, v46                                // 00000000699C: 0A5C5D2C
	v_pk_add_f32 v[62:63], v[68:69], v[70:71]                  // 0000000069A0: D3B2403E 18028D44
	v_pk_add_f32 v[62:63], v[72:73], v[62:63]                  // 0000000069A8: D3B2403E 18027D48
	v_pk_add_f32 v[62:63], v[74:75], v[62:63]                  // 0000000069B0: D3B2403E 18027D4A
	v_pk_add_f32 v[62:63], v[76:77], v[62:63]                  // 0000000069B8: D3B2403E 18027D4C
	v_pk_add_f32 v[62:63], v[78:79], v[62:63]                  // 0000000069C0: D3B2403E 18027D4E
	v_pk_add_f32 v[62:63], v[80:81], v[62:63]                  // 0000000069C8: D3B2403E 18027D50
	v_pk_add_f32 v[62:63], v[82:83], v[62:63]                  // 0000000069D0: D3B2403E 18027D52
	v_add_f32_e32 v62, v62, v63                                // 0000000069D8: 027C7F3E
	v_add_f32_e32 v46, v62, v46                                // 0000000069DC: 025C5D3E
	v_perm_b32 v68, v69, v68, s49                              // 0000000069E0: D1ED0044 00C68945
	v_perm_b32 v69, v71, v70, s49                              // 0000000069E8: D1ED0045 00C68D47
	v_perm_b32 v70, v73, v72, s49                              // 0000000069F0: D1ED0046 00C69149
	v_perm_b32 v71, v75, v74, s49                              // 0000000069F8: D1ED0047 00C6954B
	v_perm_b32 v72, v77, v76, s49                              // 000000006A00: D1ED0048 00C6994D
	v_perm_b32 v73, v79, v78, s49                              // 000000006A08: D1ED0049 00C69D4F
	v_perm_b32 v74, v81, v80, s49                              // 000000006A10: D1ED004A 00C6A151
	v_perm_b32 v75, v83, v82, s49                              // 000000006A18: D1ED004B 00C6A553
	s_waitcnt lgkmcnt(0)                                       // 000000006A20: BF8CC07F
	s_nop 0                                                    // 000000006A24: BF800000
	v_mfma_f32_32x32x8_bf16 v[100:115], a[144:145], v[68:69], v[100:115]// 000000006A28: D3E00064 0D928990
	v_mfma_f32_32x32x8_bf16 v[100:115], a[146:147], v[70:71], v[100:115]// 000000006A30: D3E00064 0D928D92
	v_mfma_f32_32x32x8_bf16 v[100:115], a[148:149], v[72:73], v[100:115]// 000000006A38: D3E00064 0D929194
	v_mfma_f32_32x32x8_bf16 v[100:115], a[150:151], v[74:75], v[100:115]// 000000006A40: D3E00064 0D929596
	v_mfma_f32_32x32x8_bf16 v[116:131], a[152:153], v[68:69], v[116:131]// 000000006A48: D3E00074 0DD28998
	v_mfma_f32_32x32x8_bf16 v[116:131], a[154:155], v[70:71], v[116:131]// 000000006A50: D3E00074 0DD28D9A
	v_mfma_f32_32x32x8_bf16 v[116:131], a[156:157], v[72:73], v[116:131]// 000000006A58: D3E00074 0DD2919C
	v_mfma_f32_32x32x8_bf16 v[116:131], a[158:159], v[74:75], v[116:131]// 000000006A60: D3E00074 0DD2959E
	v_mfma_f32_32x32x8_bf16 v[132:147], a[160:161], v[68:69], v[132:147]// 000000006A68: D3E00084 0E1289A0
	v_mfma_f32_32x32x8_bf16 v[132:147], a[162:163], v[70:71], v[132:147]// 000000006A70: D3E00084 0E128DA2
	v_mfma_f32_32x32x8_bf16 v[132:147], a[164:165], v[72:73], v[132:147]// 000000006A78: D3E00084 0E1291A4
	v_mfma_f32_32x32x8_bf16 v[132:147], a[166:167], v[74:75], v[132:147]// 000000006A80: D3E00084 0E1295A6
	v_mfma_f32_32x32x8_bf16 v[148:163], a[168:169], v[68:69], v[148:163]// 000000006A88: D3E00094 0E5289A8
	v_mfma_f32_32x32x8_bf16 v[148:163], a[170:171], v[70:71], v[148:163]// 000000006A90: D3E00094 0E528DAA
	v_mfma_f32_32x32x8_bf16 v[148:163], a[172:173], v[72:73], v[148:163]// 000000006A98: D3E00094 0E5291AC
	v_mfma_f32_32x32x8_bf16 v[148:163], a[174:175], v[74:75], v[148:163]// 000000006AA0: D3E00094 0E5295AE

0000000000006aa8 <label_0DEA>:
	v_cvt_f32_u32_e32 v40, s62                                 // 000000006AA8: 7E500C3E
	s_sub_i32 s40, 0, s62                                      // 000000006AAC: 81A83E80
	v_rcp_iflag_f32_e32 v40, v40                               // 000000006AB0: 7E504728
	s_nop 0                                                    // 000000006AB4: BF800000
	v_mul_f32_e32 v40, 0x4f7ffffe, v40                         // 000000006AB8: 0A5050FF 4F7FFFFE
	v_cvt_u32_f32_e32 v40, v40                                 // 000000006AC0: 7E500F28
	v_mul_lo_u32 v41, s40, v40                                 // 000000006AC4: D2850029 00025028
	v_mul_hi_u32 v41, v40, v41                                 // 000000006ACC: D2860029 00025328
	v_add_u32_e32 v40, v40, v41                                // 000000006AD4: 68505328
	v_mul_hi_u32 v40, s63, v40                                 // 000000006AD8: D2860028 0002503F
	v_mul_lo_u32 v41, v40, s62                                 // 000000006AE0: D2850029 00007D28
	v_sub_u32_e32 v43, s63, v41                                // 000000006AE8: 6A56523F
	v_add_u32_e32 v42, 1, v40                                  // 000000006AEC: 68545081
	v_cmp_le_u32_e32 vcc, s62, v43                             // 000000006AF0: 7D96563E
	v_subrev_u32_e32 v41, s62, v43                             // 000000006AF4: 6C52563E
	s_nop 0                                                    // 000000006AF8: BF800000
	v_cndmask_b32_e32 v40, v40, v42, vcc                       // 000000006AFC: 00505528
	v_cndmask_b32_e32 v43, v43, v41, vcc                       // 000000006B00: 0056532B
	v_add_u32_e32 v41, 1, v40                                  // 000000006B04: 68525081
	v_cmp_le_u32_e32 vcc, s62, v43                             // 000000006B08: 7D96563E
	s_nop 1                                                    // 000000006B0C: BF800001
	v_cndmask_b32_e32 v43, v40, v41, vcc                       // 000000006B10: 00565328
	s_nop 3                                                    // 000000006B14: BF800003
	v_readfirstlane_b32 s63, v43                               // 000000006B18: 7E7E052B
	s_nop 3                                                    // 000000006B1C: BF800003
	s_mul_i32 s63, s63, s83                                    // 000000006B20: 923F533F
	v_lshrrev_b32_e32 v40, 3, v0                               // 000000006B24: 20500083
	v_mul_i32_i24_e32 v28, s83, v40                            // 000000006B28: 0C385053
	v_and_b32_e32 v40, 7, v0                                   // 000000006B2C: 26500087
	v_mul_i32_i24_e32 v40, 16, v40                             // 000000006B30: 0C505090
	v_add_u32_e32 v28, v40, v28                                // 000000006B34: 68383928
	s_mul_i32 s40, s5, s83                                     // 000000006B38: 92285305
	s_mul_i32 s40, s40, 32                                     // 000000006B3C: 9228A028
	s_add_u32 s40, s63, s40                                    // 000000006B40: 8028283F
	v_add_u32_e32 v28, s40, v28                                // 000000006B44: 68383828
	s_mul_i32 s40, s83, 8                                      // 000000006B48: 92288853
	v_add_u32_e32 v29, s40, v28                                // 000000006B4C: 683A3828
	v_add_u32_e32 v30, s40, v29                                // 000000006B50: 683C3A28
	v_add_u32_e32 v31, s40, v30                                // 000000006B54: 683E3C28
	s_mul_i32 s40, s3, 0x80                                    // 000000006B58: 9228FF03 00000080
	v_and_b32_e32 v3, 31, v0                                   // 000000006B60: 2606009F
	v_add_u32_e32 v3, s40, v3                                  // 000000006B64: 68060628
	s_mul_i32 s40, s5, 32                                      // 000000006B68: 9228A005
	v_add_u32_e32 v3, s40, v3                                  // 000000006B6C: 68060628
	v_lshlrev_b32_e32 v3, 2, v3                                // 000000006B70: 24060682
	ds_permute_b32 v40, v56, v46                               // 000000006B74: D87C0000 28002E38
	s_waitcnt lgkmcnt(0)                                       // 000000006B7C: BF8CC07F
	v_add_f32_e32 v46, v40, v46                                // 000000006B80: 025C5D28
	v_mul_f32_e64 v40, v52, s28                                // 000000006B84: D1050028 00003934
	v_log_f32_e32 v41, v46                                     // 000000006B8C: 7E52432E
	v_cmp_eq_f32_e64 s[40:41], v46, 0                          // 000000006B90: D0420028 0001012E
	s_nop 1                                                    // 000000006B98: BF800001
	v_rcp_f32_e32 v46, v46                                     // 000000006B9C: 7E5C452E
	s_nop 1                                                    // 000000006BA0: BF800001
	v_cndmask_b32_e64 v46, v46, 0, s[40:41]                    // 000000006BA4: D100002E 00A1012E
	v_fma_f32 v2, v41, s45, v40                                // 000000006BAC: D1CB0002 04A05B29
	v_mov_b32_e32 v47, v46                                     // 000000006BB4: 7E5E032E
	v_lshrrev_b32_e32 v40, 5, v0                               // 000000006BB8: 20500085
	v_mul_i32_i24_e32 v59, 0x42, v40                           // 000000006BBC: 0C7650FF 00000042
	v_and_b32_e32 v40, 31, v0                                  // 000000006BC4: 2650009F
	v_mul_i32_i24_e32 v40, 2, v40                              // 000000006BC8: 0C505082
	v_add_u32_e32 v59, v40, v59                                // 000000006BCC: 68767728
	s_mul_i32 s40, s5, 0x420                                   // 000000006BD0: 9228FF05 00000420
	v_add_u32_e32 v59, s40, v59                                // 000000006BD8: 68767628
	v_lshlrev_b32_e32 v59, 2, v59                              // 000000006BDC: 24767682
	v_lshrrev_b32_e32 v40, 3, v0                               // 000000006BE0: 20500083
	v_mul_i32_i24_e32 v58, 2, v40                              // 000000006BE4: 0C745082
	v_and_b32_e32 v40, 7, v0                                   // 000000006BE8: 26500087
	v_mul_i32_i24_e32 v40, 0x84, v40                           // 000000006BEC: 0C5050FF 00000084
	v_add_u32_e32 v58, v40, v58                                // 000000006BF4: 68747528
	s_mul_i32 s40, s5, 0x420                                   // 000000006BF8: 9228FF05 00000420
	v_add_u32_e32 v58, s40, v58                                // 000000006C00: 68747428
	v_lshlrev_b32_e32 v58, 2, v58                              // 000000006C04: 24747482
	s_waitcnt vmcnt(0) expcnt(0) lgkmcnt(0)                    // 000000006C08: BF8C0000
	s_barrier                                                  // 000000006C0C: BF8A0000
	v_pk_mul_f32 v[100:101], v[46:47], v[100:101]              // 000000006C10: D3B14064 1802C92E
	v_pk_mul_f32 v[102:103], v[46:47], v[102:103]              // 000000006C18: D3B14066 1802CD2E
	v_pk_mul_f32 v[104:105], v[46:47], v[104:105]              // 000000006C20: D3B14068 1802D12E
	v_pk_mul_f32 v[106:107], v[46:47], v[106:107]              // 000000006C28: D3B1406A 1802D52E
	v_pk_mul_f32 v[108:109], v[46:47], v[108:109]              // 000000006C30: D3B1406C 1802D92E
	v_pk_mul_f32 v[110:111], v[46:47], v[110:111]              // 000000006C38: D3B1406E 1802DD2E
	v_pk_mul_f32 v[112:113], v[46:47], v[112:113]              // 000000006C40: D3B14070 1802E12E
	v_pk_mul_f32 v[114:115], v[46:47], v[114:115]              // 000000006C48: D3B14072 1802E52E
	v_pk_mul_f32 v[116:117], v[46:47], v[116:117]              // 000000006C50: D3B14074 1802E92E
	v_pk_mul_f32 v[118:119], v[46:47], v[118:119]              // 000000006C58: D3B14076 1802ED2E
	v_pk_mul_f32 v[120:121], v[46:47], v[120:121]              // 000000006C60: D3B14078 1802F12E
	v_pk_mul_f32 v[122:123], v[46:47], v[122:123]              // 000000006C68: D3B1407A 1802F52E
	v_pk_mul_f32 v[124:125], v[46:47], v[124:125]              // 000000006C70: D3B1407C 1802F92E
	v_pk_mul_f32 v[126:127], v[46:47], v[126:127]              // 000000006C78: D3B1407E 1802FD2E
	v_pk_mul_f32 v[128:129], v[46:47], v[128:129]              // 000000006C80: D3B14080 1803012E
	v_pk_mul_f32 v[130:131], v[46:47], v[130:131]              // 000000006C88: D3B14082 1803052E
	v_perm_b32 v100, v101, v100, s49                           // 000000006C90: D1ED0064 00C6C965
	v_perm_b32 v101, v103, v102, s49                           // 000000006C98: D1ED0065 00C6CD67
	v_perm_b32 v102, v105, v104, s49                           // 000000006CA0: D1ED0066 00C6D169
	v_perm_b32 v103, v107, v106, s49                           // 000000006CA8: D1ED0067 00C6D56B
	v_perm_b32 v104, v109, v108, s49                           // 000000006CB0: D1ED0068 00C6D96D
	v_perm_b32 v105, v111, v110, s49                           // 000000006CB8: D1ED0069 00C6DD6F
	v_perm_b32 v106, v113, v112, s49                           // 000000006CC0: D1ED006A 00C6E171
	v_perm_b32 v107, v115, v114, s49                           // 000000006CC8: D1ED006B 00C6E573
	v_perm_b32 v108, v117, v116, s49                           // 000000006CD0: D1ED006C 00C6E975
	v_perm_b32 v109, v119, v118, s49                           // 000000006CD8: D1ED006D 00C6ED77
	v_perm_b32 v110, v121, v120, s49                           // 000000006CE0: D1ED006E 00C6F179
	v_perm_b32 v111, v123, v122, s49                           // 000000006CE8: D1ED006F 00C6F57B
	v_perm_b32 v112, v125, v124, s49                           // 000000006CF0: D1ED0070 00C6F97D
	v_perm_b32 v113, v127, v126, s49                           // 000000006CF8: D1ED0071 00C6FD7F
	v_perm_b32 v114, v129, v128, s49                           // 000000006D00: D1ED0072 00C70181
	v_perm_b32 v115, v131, v130, s49                           // 000000006D08: D1ED0073 00C70583
	ds_write_b64 v59, v[100:101]                               // 000000006D10: D89A0000 0000643B
	ds_write_b64 v59, v[102:103] offset:528                    // 000000006D18: D89A0210 0000663B
	ds_write_b64 v59, v[104:105] offset:1056                   // 000000006D20: D89A0420 0000683B
	ds_write_b64 v59, v[106:107] offset:1584                   // 000000006D28: D89A0630 00006A3B
	ds_write_b64 v59, v[108:109] offset:2112                   // 000000006D30: D89A0840 00006C3B
	ds_write_b64 v59, v[110:111] offset:2640                   // 000000006D38: D89A0A50 00006E3B
	ds_write_b64 v59, v[112:113] offset:3168                   // 000000006D40: D89A0C60 0000703B
	ds_write_b64 v59, v[114:115] offset:3696                   // 000000006D48: D89A0E70 0000723B
	s_waitcnt vmcnt(0) expcnt(0) lgkmcnt(0)                    // 000000006D50: BF8C0000
	ds_read_b64 v[100:101], v58                                // 000000006D54: D8EC0000 6400003A
	ds_read_b64 v[102:103], v58 offset:264                     // 000000006D5C: D8EC0108 6600003A
	ds_read_b64 v[104:105], v58 offset:64                      // 000000006D64: D8EC0040 6800003A
	ds_read_b64 v[106:107], v58 offset:328                     // 000000006D6C: D8EC0148 6A00003A
	ds_read_b64 v[108:109], v58 offset:128                     // 000000006D74: D8EC0080 6C00003A
	ds_read_b64 v[110:111], v58 offset:392                     // 000000006D7C: D8EC0188 6E00003A
	ds_read_b64 v[112:113], v58 offset:192                     // 000000006D84: D8EC00C0 7000003A
	ds_read_b64 v[114:115], v58 offset:456                     // 000000006D8C: D8EC01C8 7200003A
	s_waitcnt vmcnt(0) expcnt(0) lgkmcnt(0)                    // 000000006D94: BF8C0000
	buffer_store_dwordx4 v[100:103], v28, s[20:23], 0 offen    // 000000006D98: E07C1000 8005641C
	buffer_store_dwordx4 v[104:107], v29, s[20:23], 0 offen    // 000000006DA0: E07C1000 8005681D
	buffer_store_dwordx4 v[108:111], v30, s[20:23], 0 offen    // 000000006DA8: E07C1000 80056C1E
	buffer_store_dwordx4 v[112:115], v31, s[20:23], 0 offen    // 000000006DB0: E07C1000 8005701F
	v_pk_mul_f32 v[132:133], v[46:47], v[132:133]              // 000000006DB8: D3B14084 1803092E
	v_pk_mul_f32 v[134:135], v[46:47], v[134:135]              // 000000006DC0: D3B14086 18030D2E
	v_pk_mul_f32 v[136:137], v[46:47], v[136:137]              // 000000006DC8: D3B14088 1803112E
	v_pk_mul_f32 v[138:139], v[46:47], v[138:139]              // 000000006DD0: D3B1408A 1803152E
	v_pk_mul_f32 v[140:141], v[46:47], v[140:141]              // 000000006DD8: D3B1408C 1803192E
	v_pk_mul_f32 v[142:143], v[46:47], v[142:143]              // 000000006DE0: D3B1408E 18031D2E
	v_pk_mul_f32 v[144:145], v[46:47], v[144:145]              // 000000006DE8: D3B14090 1803212E
	v_pk_mul_f32 v[146:147], v[46:47], v[146:147]              // 000000006DF0: D3B14092 1803252E
	v_pk_mul_f32 v[148:149], v[46:47], v[148:149]              // 000000006DF8: D3B14094 1803292E
	v_pk_mul_f32 v[150:151], v[46:47], v[150:151]              // 000000006E00: D3B14096 18032D2E
	v_pk_mul_f32 v[152:153], v[46:47], v[152:153]              // 000000006E08: D3B14098 1803312E
	v_pk_mul_f32 v[154:155], v[46:47], v[154:155]              // 000000006E10: D3B1409A 1803352E
	v_pk_mul_f32 v[156:157], v[46:47], v[156:157]              // 000000006E18: D3B1409C 1803392E
	v_pk_mul_f32 v[158:159], v[46:47], v[158:159]              // 000000006E20: D3B1409E 18033D2E
	v_pk_mul_f32 v[160:161], v[46:47], v[160:161]              // 000000006E28: D3B140A0 1803412E
	v_pk_mul_f32 v[162:163], v[46:47], v[162:163]              // 000000006E30: D3B140A2 1803452E
	v_perm_b32 v132, v133, v132, s49                           // 000000006E38: D1ED0084 00C70985
	v_perm_b32 v133, v135, v134, s49                           // 000000006E40: D1ED0085 00C70D87
	v_perm_b32 v134, v137, v136, s49                           // 000000006E48: D1ED0086 00C71189
	v_perm_b32 v135, v139, v138, s49                           // 000000006E50: D1ED0087 00C7158B
	v_perm_b32 v136, v141, v140, s49                           // 000000006E58: D1ED0088 00C7198D
	v_perm_b32 v137, v143, v142, s49                           // 000000006E60: D1ED0089 00C71D8F
	v_perm_b32 v138, v145, v144, s49                           // 000000006E68: D1ED008A 00C72191
	v_perm_b32 v139, v147, v146, s49                           // 000000006E70: D1ED008B 00C72593
	v_perm_b32 v140, v149, v148, s49                           // 000000006E78: D1ED008C 00C72995
	v_perm_b32 v141, v151, v150, s49                           // 000000006E80: D1ED008D 00C72D97
	v_perm_b32 v142, v153, v152, s49                           // 000000006E88: D1ED008E 00C73199
	v_perm_b32 v143, v155, v154, s49                           // 000000006E90: D1ED008F 00C7359B
	v_perm_b32 v144, v157, v156, s49                           // 000000006E98: D1ED0090 00C7399D
	v_perm_b32 v145, v159, v158, s49                           // 000000006EA0: D1ED0091 00C73D9F
	v_perm_b32 v146, v161, v160, s49                           // 000000006EA8: D1ED0092 00C741A1
	v_perm_b32 v147, v163, v162, s49                           // 000000006EB0: D1ED0093 00C745A3
	ds_write_b64 v59, v[132:133]                               // 000000006EB8: D89A0000 0000843B
	ds_write_b64 v59, v[134:135] offset:528                    // 000000006EC0: D89A0210 0000863B
	ds_write_b64 v59, v[136:137] offset:1056                   // 000000006EC8: D89A0420 0000883B
	ds_write_b64 v59, v[138:139] offset:1584                   // 000000006ED0: D89A0630 00008A3B
	ds_write_b64 v59, v[140:141] offset:2112                   // 000000006ED8: D89A0840 00008C3B
	ds_write_b64 v59, v[142:143] offset:2640                   // 000000006EE0: D89A0A50 00008E3B
	ds_write_b64 v59, v[144:145] offset:3168                   // 000000006EE8: D89A0C60 0000903B
	ds_write_b64 v59, v[146:147] offset:3696                   // 000000006EF0: D89A0E70 0000923B
	s_waitcnt vmcnt(0) expcnt(0) lgkmcnt(0)                    // 000000006EF8: BF8C0000
	ds_read_b64 v[132:133], v58                                // 000000006EFC: D8EC0000 8400003A
	ds_read_b64 v[134:135], v58 offset:264                     // 000000006F04: D8EC0108 8600003A
	ds_read_b64 v[136:137], v58 offset:64                      // 000000006F0C: D8EC0040 8800003A
	ds_read_b64 v[138:139], v58 offset:328                     // 000000006F14: D8EC0148 8A00003A
	ds_read_b64 v[140:141], v58 offset:128                     // 000000006F1C: D8EC0080 8C00003A
	ds_read_b64 v[142:143], v58 offset:392                     // 000000006F24: D8EC0188 8E00003A
	ds_read_b64 v[144:145], v58 offset:192                     // 000000006F2C: D8EC00C0 9000003A
	ds_read_b64 v[146:147], v58 offset:456                     // 000000006F34: D8EC01C8 9200003A
	s_waitcnt vmcnt(0) expcnt(0) lgkmcnt(0)                    // 000000006F3C: BF8C0000
	buffer_store_dwordx4 v[132:135], v28, s[20:23], 0 offen offset:128// 000000006F40: E07C1080 8005841C
	buffer_store_dwordx4 v[136:139], v29, s[20:23], 0 offen offset:128// 000000006F48: E07C1080 8005881D
	buffer_store_dwordx4 v[140:143], v30, s[20:23], 0 offen offset:128// 000000006F50: E07C1080 80058C1E
	buffer_store_dwordx4 v[144:147], v31, s[20:23], 0 offen offset:128// 000000006F58: E07C1080 8005901F
	s_cmp_eq_u32 s37, 0                                        // 000000006F60: BF068025
	s_cbranch_scc1 label_0F20                                  // 000000006F64: BF850006
	v_cmp_ge_f32_e64 s[40:41], v2, v55                         // 000000006F68: D0460028 00026F02
	v_cndmask_b32_e64 v2, v55, v2, s[40:41]                    // 000000006F70: D1000002 00A20537
	buffer_store_dword v2, v3, s[24:27], 0 offen               // 000000006F78: E0701000 80060203

0000000000006f80 <label_0F20>:
	s_waitcnt vmcnt(0) expcnt(0) lgkmcnt(0)                    // 000000006F80: BF8C0000
	s_endpgm                                                   // 000000006F84: BF810000
